;; amdgpu-corpus repo=ROCm/rocFFT kind=compiled arch=gfx1201 opt=O3
	.text
	.amdgcn_target "amdgcn-amd-amdhsa--gfx1201"
	.amdhsa_code_object_version 6
	.protected	bluestein_single_back_len1728_dim1_sp_op_CI_CI ; -- Begin function bluestein_single_back_len1728_dim1_sp_op_CI_CI
	.globl	bluestein_single_back_len1728_dim1_sp_op_CI_CI
	.p2align	8
	.type	bluestein_single_back_len1728_dim1_sp_op_CI_CI,@function
bluestein_single_back_len1728_dim1_sp_op_CI_CI: ; @bluestein_single_back_len1728_dim1_sp_op_CI_CI
; %bb.0:
	s_load_b128 s[8:11], s[0:1], 0x28
	v_mul_u32_u24_e32 v1, 0x25f, v0
	s_mov_b32 s2, exec_lo
	v_mov_b32_e32 v119, 0
	s_delay_alu instid0(VALU_DEP_2) | instskip(NEXT) | instid1(VALU_DEP_1)
	v_lshrrev_b32_e32 v1, 16, v1
	v_add_nc_u32_e32 v118, ttmp9, v1
	s_wait_kmcnt 0x0
	s_delay_alu instid0(VALU_DEP_1)
	v_cmpx_gt_u64_e64 s[8:9], v[118:119]
	s_cbranch_execz .LBB0_31
; %bb.1:
	s_clause 0x1
	s_load_b128 s[4:7], s[0:1], 0x18
	s_load_b64 s[16:17], s[0:1], 0x0
	v_mul_lo_u16 v1, 0x6c, v1
	s_movk_i32 s2, 0xfbec
	s_mov_b32 s3, -1
	s_delay_alu instid0(VALU_DEP_1) | instskip(NEXT) | instid1(VALU_DEP_1)
	v_sub_nc_u16 v40, v0, v1
	v_and_b32_e32 v160, 0xffff, v40
	s_wait_kmcnt 0x0
	s_load_b128 s[12:15], s[4:5], 0x0
	s_wait_kmcnt 0x0
	v_mad_co_u64_u32 v[0:1], null, s14, v118, 0
	v_mad_co_u64_u32 v[2:3], null, s12, v160, 0
	s_mul_u64 s[4:5], s[12:13], 0x240
	s_mul_u64 s[2:3], s[12:13], s[2:3]
	s_delay_alu instid0(SALU_CYCLE_1) | instskip(NEXT) | instid1(VALU_DEP_1)
	s_lshl_b64 s[2:3], s[2:3], 3
	v_mad_co_u64_u32 v[6:7], null, s15, v118, v[1:2]
	s_delay_alu instid0(VALU_DEP_1)
	v_mov_b32_e32 v1, v6
	v_or_b32_e32 v161, 0x480, v160
	v_lshlrev_b32_e32 v159, 3, v160
	s_clause 0x3
	global_load_b64 v[133:134], v159, s[16:17] offset:9216
	global_load_b64 v[119:120], v159, s[16:17] offset:10080
	;; [unrolled: 1-line block ×4, first 2 shown]
	v_mad_co_u64_u32 v[4:5], null, s12, v161, 0
	v_lshlrev_b64_e32 v[0:1], 3, v[0:1]
	s_clause 0x8
	global_load_b64 v[137:138], v159, s[16:17]
	global_load_b64 v[135:136], v159, s[16:17] offset:864
	global_load_b64 v[129:130], v159, s[16:17] offset:1728
	;; [unrolled: 1-line block ×8, first 2 shown]
	v_mad_co_u64_u32 v[7:8], null, s13, v160, v[3:4]
	v_mad_co_u64_u32 v[5:6], null, s13, v161, v[5:6]
	v_add_co_u32 v8, vcc_lo, s10, v0
	v_add_co_ci_u32_e32 v9, vcc_lo, s11, v1, vcc_lo
	s_delay_alu instid0(VALU_DEP_4) | instskip(SKIP_1) | instid1(VALU_DEP_4)
	v_mov_b32_e32 v3, v7
	s_lshl_b64 s[10:11], s[4:5], 3
	v_lshlrev_b64_e32 v[4:5], 3, v[4:5]
	s_mul_i32 s4, s13, 0xfffff160
	s_delay_alu instid0(VALU_DEP_2) | instskip(SKIP_1) | instid1(VALU_DEP_1)
	v_lshlrev_b64_e32 v[2:3], 3, v[2:3]
	s_sub_co_i32 s4, s4, s12
	v_add_co_u32 v0, vcc_lo, v8, v2
	s_wait_alu 0xfffd
	s_delay_alu instid0(VALU_DEP_2) | instskip(SKIP_1) | instid1(VALU_DEP_2)
	v_add_co_ci_u32_e32 v1, vcc_lo, v9, v3, vcc_lo
	s_wait_alu 0xfffe
	v_add_co_u32 v2, vcc_lo, v0, s10
	s_wait_alu 0xfffd
	s_delay_alu instid0(VALU_DEP_2) | instskip(SKIP_3) | instid1(VALU_DEP_3)
	v_add_co_ci_u32_e32 v3, vcc_lo, s11, v1, vcc_lo
	v_add_co_u32 v4, vcc_lo, v8, v4
	s_wait_alu 0xfffd
	v_add_co_ci_u32_e32 v5, vcc_lo, v9, v5, vcc_lo
	v_mad_co_u64_u32 v[6:7], null, 0xfffff160, s12, v[2:3]
	s_clause 0x2
	global_load_b64 v[8:9], v[0:1], off
	global_load_b64 v[2:3], v[2:3], off
	;; [unrolled: 1-line block ×3, first 2 shown]
	v_add_nc_u32_e32 v7, s4, v7
	v_add_co_u32 v0, vcc_lo, v6, s10
	s_wait_loadcnt 0x2
	v_mul_f32_e32 v42, v8, v138
	s_wait_loadcnt 0x1
	v_mul_f32_e32 v36, v3, v140
	s_wait_alu 0xfffd
	v_add_co_ci_u32_e32 v1, vcc_lo, s11, v7, vcc_lo
	v_add_co_u32 v4, vcc_lo, v0, s10
	global_load_b64 v[12:13], v[6:7], off
	s_wait_alu 0xfffd
	v_add_co_ci_u32_e32 v5, vcc_lo, s11, v1, vcc_lo
	global_load_b64 v[14:15], v[0:1], off
	v_add_co_u32 v108, s12, s16, v159
	global_load_b64 v[16:17], v[4:5], off
	v_add_co_u32 v0, vcc_lo, v4, s2
	s_wait_alu 0xfffd
	v_add_co_ci_u32_e32 v1, vcc_lo, s3, v5, vcc_lo
	v_mul_f32_e32 v37, v2, v140
	s_delay_alu instid0(VALU_DEP_3) | instskip(SKIP_1) | instid1(VALU_DEP_3)
	v_add_co_u32 v4, vcc_lo, v0, s10
	s_wait_alu 0xfffd
	v_add_co_ci_u32_e32 v5, vcc_lo, s11, v1, vcc_lo
	global_load_b64 v[18:19], v[0:1], off
	v_add_co_u32 v0, vcc_lo, v4, s10
	s_wait_alu 0xfffd
	v_add_co_ci_u32_e32 v1, vcc_lo, s11, v5, vcc_lo
	global_load_b64 v[20:21], v[4:5], off
	;; [unrolled: 4-line block ×7, first 2 shown]
	v_add_co_u32 v0, vcc_lo, v4, s10
	s_wait_alu 0xfffd
	v_add_co_ci_u32_e32 v1, vcc_lo, s11, v5, vcc_lo
	global_load_b64 v[123:124], v159, s[16:17] offset:8064
	global_load_b64 v[32:33], v[4:5], off
	global_load_b64 v[127:128], v159, s[16:17] offset:12672
	global_load_b64 v[34:35], v[0:1], off
	v_dual_mul_f32 v7, v9, v138 :: v_dual_add_nc_u32 v4, 0x1800, v159
	s_wait_loadcnt 0xe
	v_mul_f32_e32 v39, v10, v134
	v_fmac_f32_e32 v36, v2, v139
	v_dual_mul_f32 v38, v11, v134 :: v_dual_add_nc_u32 v5, 0x1400, v159
	v_fmac_f32_e32 v7, v8, v137
	v_fma_f32 v8, v9, v137, -v42
	v_add_nc_u32_e32 v41, 0x2400, v159
	s_load_b64 s[8:9], s[0:1], 0x38
	s_load_b128 s[4:7], s[6:7], 0x0
	v_fmac_f32_e32 v38, v10, v133
	v_add_co_ci_u32_e64 v109, null, s17, 0, s12
	v_add_nc_u32_e32 v6, 0x400, v159
	v_cmp_gt_u16_e32 vcc_lo, 36, v40
	s_wait_loadcnt 0xd
	v_mul_f32_e32 v2, v13, v136
	v_fma_f32 v39, v11, v133, -v39
	s_wait_loadcnt 0xc
	s_delay_alu instid0(VALU_DEP_2)
	v_dual_mul_f32 v9, v15, v132 :: v_dual_fmac_f32 v2, v12, v135
	v_fma_f32 v37, v3, v139, -v37
	v_mul_f32_e32 v3, v12, v136
	ds_store_b64 v159, v[36:37] offset:4608
	ds_store_b64 v159, v[38:39] offset:9216
	v_fma_f32 v3, v13, v135, -v3
	s_wait_loadcnt 0xb
	v_mul_f32_e32 v11, v17, v120
	v_mul_f32_e32 v10, v14, v132
	ds_store_2addr_b64 v159, v[7:8], v[2:3] offset1:108
	s_wait_loadcnt 0xa
	v_mul_f32_e32 v2, v19, v130
	v_mul_f32_e32 v3, v18, v130
	s_wait_loadcnt 0x9
	v_mul_f32_e32 v7, v21, v117
	v_mul_f32_e32 v8, v20, v117
	v_dual_mul_f32 v12, v16, v120 :: v_dual_fmac_f32 v9, v14, v131
	s_wait_loadcnt 0x8
	v_dual_fmac_f32 v2, v18, v129 :: v_dual_mul_f32 v13, v23, v126
	v_dual_mul_f32 v14, v22, v126 :: v_dual_fmac_f32 v11, v16, v119
	v_fma_f32 v10, v15, v131, -v10
	v_fma_f32 v8, v21, v116, -v8
	s_wait_loadcnt 0x7
	v_mul_f32_e32 v16, v24, v122
	v_fmac_f32_e32 v7, v20, v116
	v_fma_f32 v12, v17, v119, -v12
	v_fmac_f32_e32 v13, v22, v125
	v_fma_f32 v14, v23, v125, -v14
	v_mul_f32_e32 v15, v25, v122
	ds_store_2addr_b64 v5, v[9:10], v[7:8] offset0:44 offset1:152
	ds_store_2addr_b64 v41, v[11:12], v[13:14] offset0:108 offset1:216
	s_wait_loadcnt 0x6
	v_mul_f32_e32 v7, v27, v111
	s_wait_loadcnt 0x5
	v_dual_mul_f32 v8, v26, v111 :: v_dual_mul_f32 v9, v29, v113
	v_mul_f32_e32 v10, v28, v113
	v_fma_f32 v3, v19, v129, -v3
	v_fma_f32 v16, v25, v121, -v16
	s_wait_loadcnt 0x4
	v_mul_f32_e32 v12, v30, v115
	v_mul_f32_e32 v11, v31, v115
	v_fmac_f32_e32 v15, v24, v121
	s_wait_loadcnt 0x2
	v_mul_f32_e32 v13, v33, v124
	v_mul_f32_e32 v14, v32, v124
	s_wait_loadcnt 0x0
	v_mul_f32_e32 v18, v34, v128
	v_mul_f32_e32 v17, v35, v128
	v_fmac_f32_e32 v11, v30, v114
	v_fma_f32 v12, v31, v114, -v12
	v_fmac_f32_e32 v7, v26, v110
	v_fma_f32 v8, v27, v110, -v8
	v_fmac_f32_e32 v13, v32, v123
	v_fma_f32 v14, v33, v123, -v14
	v_fmac_f32_e32 v9, v28, v112
	v_fma_f32 v10, v29, v112, -v10
	v_fmac_f32_e32 v17, v34, v127
	v_fma_f32 v18, v35, v127, -v18
	v_add_nc_u32_e32 v19, 0x2c00, v159
	ds_store_2addr_b64 v6, v[2:3], v[15:16] offset0:88 offset1:196
	ds_store_b64 v159, v[11:12] offset:3456
	ds_store_2addr_b64 v4, v[7:8], v[13:14] offset0:132 offset1:240
	ds_store_2addr_b64 v19, v[9:10], v[17:18] offset0:68 offset1:176
	s_and_saveexec_b32 s12, vcc_lo
	s_cbranch_execz .LBB0_3
; %bb.2:
	v_add_co_u32 v0, s2, v0, s2
	s_wait_alu 0xf1ff
	v_add_co_ci_u32_e64 v1, s2, s3, v1, s2
	global_load_b64 v[7:8], v[108:109], off offset:4320
	global_load_b64 v[2:3], v[0:1], off
	v_add_co_u32 v0, s2, v0, s10
	s_wait_alu 0xf1ff
	v_add_co_ci_u32_e64 v1, s2, s11, v1, s2
	v_add_nc_u32_e32 v17, 0xe0, v159
	s_delay_alu instid0(VALU_DEP_3) | instskip(SKIP_1) | instid1(VALU_DEP_3)
	v_add_co_u32 v9, s2, v0, s10
	s_wait_alu 0xf1ff
	v_add_co_ci_u32_e64 v10, s2, s11, v1, s2
	global_load_b64 v[0:1], v[0:1], off
	s_clause 0x1
	global_load_b64 v[11:12], v[108:109], off offset:8928
	global_load_b64 v[13:14], v[108:109], off offset:13536
	global_load_b64 v[9:10], v[9:10], off
	s_wait_loadcnt 0x4
	v_mul_f32_e32 v16, v2, v8
	v_mul_f32_e32 v15, v3, v8
	s_delay_alu instid0(VALU_DEP_2) | instskip(SKIP_2) | instid1(VALU_DEP_3)
	v_fma_f32 v16, v3, v7, -v16
	s_wait_loadcnt 0x0
	v_mul_f32_e32 v8, v10, v14
	v_dual_fmac_f32 v15, v2, v7 :: v_dual_mul_f32 v2, v1, v12
	v_mul_f32_e32 v12, v0, v12
	v_mul_f32_e32 v14, v9, v14
	s_delay_alu instid0(VALU_DEP_4) | instskip(NEXT) | instid1(VALU_DEP_4)
	v_fmac_f32_e32 v8, v9, v13
	v_fmac_f32_e32 v2, v0, v11
	s_delay_alu instid0(VALU_DEP_4) | instskip(NEXT) | instid1(VALU_DEP_4)
	v_fma_f32 v3, v1, v11, -v12
	v_fma_f32 v9, v10, v13, -v14
	ds_store_2addr_stride64_b64 v17, v[15:16], v[2:3] offset0:8 offset1:17
	ds_store_b64 v159, v[8:9] offset:13536
.LBB0_3:
	s_wait_alu 0xfffe
	s_or_b32 exec_lo, exec_lo, s12
	v_add_nc_u32_e32 v0, 0xc00, v159
	v_add_nc_u32_e32 v7, 0x2000, v159
	;; [unrolled: 1-line block ×3, first 2 shown]
	global_wb scope:SCOPE_SE
	s_wait_dscnt 0x0
	s_wait_kmcnt 0x0
	s_barrier_signal -1
	s_barrier_wait -1
	global_inv scope:SCOPE_SE
	ds_load_2addr_b64 v[12:15], v159 offset1:108
	ds_load_2addr_b64 v[0:3], v0 offset0:48 offset1:192
	ds_load_2addr_b64 v[28:31], v7 offset0:128 offset1:236
	;; [unrolled: 1-line block ×6, first 2 shown]
	ds_load_b64 v[34:35], v159 offset:12672
                                        ; implicit-def: $vgpr4
                                        ; implicit-def: $vgpr32
	s_and_saveexec_b32 s2, vcc_lo
	s_cbranch_execz .LBB0_5
; %bb.4:
	v_add_nc_u32_e32 v4, 0xe0, v159
	ds_load_2addr_stride64_b64 v[4:7], v4 offset0:8 offset1:17
	ds_load_b64 v[32:33], v159 offset:13536
.LBB0_5:
	s_wait_alu 0xfffe
	s_or_b32 exec_lo, exec_lo, s2
	s_load_b64 s[2:3], s[0:1], 0x8
	v_add_co_u32 v84, s0, 0x6c, v160
	s_wait_alu 0xf1ff
	v_add_co_ci_u32_e64 v36, null, 0, 0, s0
	s_wait_dscnt 0x5
	v_dual_add_f32 v38, v3, v29 :: v_dual_add_nc_u32 v41, 0x1b0, v160
	v_dual_add_f32 v36, v2, v28 :: v_dual_sub_f32 v39, v3, v29
	v_dual_add_f32 v37, v12, v2 :: v_dual_add_nc_u32 v40, 0x144, v160
	v_dual_add_f32 v3, v13, v3 :: v_dual_sub_f32 v2, v2, v28
	s_delay_alu instid0(VALU_DEP_3) | instskip(SKIP_1) | instid1(VALU_DEP_3)
	v_fma_f32 v12, -0.5, v36, v12
	v_fma_f32 v13, -0.5, v38, v13
	v_dual_add_f32 v36, v37, v28 :: v_dual_add_f32 v37, v3, v29
	s_wait_dscnt 0x4
	s_delay_alu instid0(VALU_DEP_3) | instskip(NEXT) | instid1(VALU_DEP_3)
	v_dual_add_f32 v3, v24, v30 :: v_dual_fmamk_f32 v28, v39, 0x3f5db3d7, v12
	v_dual_fmac_f32 v12, 0xbf5db3d7, v39 :: v_dual_fmamk_f32 v29, v2, 0xbf5db3d7, v13
	v_dual_add_f32 v38, v14, v24 :: v_dual_fmac_f32 v13, 0x3f5db3d7, v2
	v_add_f32_e32 v2, v25, v31
	s_delay_alu instid0(VALU_DEP_4) | instskip(NEXT) | instid1(VALU_DEP_3)
	v_fma_f32 v14, -0.5, v3, v14
	v_dual_sub_f32 v3, v25, v31 :: v_dual_add_f32 v38, v38, v30
	v_add_f32_e32 v25, v15, v25
	s_delay_alu instid0(VALU_DEP_4) | instskip(SKIP_1) | instid1(VALU_DEP_4)
	v_fmac_f32_e32 v15, -0.5, v2
	v_sub_f32_e32 v2, v24, v30
	v_fmamk_f32 v24, v3, 0x3f5db3d7, v14
	s_wait_dscnt 0x2
	v_dual_fmac_f32 v14, 0xbf5db3d7, v3 :: v_dual_add_f32 v3, v26, v20
	v_add_f32_e32 v39, v25, v31
	v_dual_fmamk_f32 v25, v2, 0xbf5db3d7, v15 :: v_dual_add_f32 v30, v8, v26
	v_dual_fmac_f32 v15, 0x3f5db3d7, v2 :: v_dual_add_f32 v2, v27, v21
	s_delay_alu instid0(VALU_DEP_4) | instskip(NEXT) | instid1(VALU_DEP_3)
	v_fma_f32 v8, -0.5, v3, v8
	v_dual_sub_f32 v3, v27, v21 :: v_dual_add_f32 v30, v30, v20
	v_add_f32_e32 v27, v9, v27
	s_delay_alu instid0(VALU_DEP_4) | instskip(SKIP_1) | instid1(VALU_DEP_4)
	v_fma_f32 v9, -0.5, v2, v9
	v_sub_f32_e32 v2, v26, v20
	v_fmamk_f32 v20, v3, 0x3f5db3d7, v8
	s_delay_alu instid0(VALU_DEP_4)
	v_dual_fmac_f32 v8, 0xbf5db3d7, v3 :: v_dual_add_f32 v31, v27, v21
	s_wait_dscnt 0x1
	v_add_f32_e32 v3, v16, v22
	v_fmamk_f32 v21, v2, 0xbf5db3d7, v9
	v_dual_add_f32 v26, v10, v16 :: v_dual_fmac_f32 v9, 0x3f5db3d7, v2
	v_add_f32_e32 v2, v17, v23
	s_delay_alu instid0(VALU_DEP_4) | instskip(NEXT) | instid1(VALU_DEP_3)
	v_fma_f32 v10, -0.5, v3, v10
	v_dual_sub_f32 v3, v17, v23 :: v_dual_add_f32 v26, v26, v22
	v_add_f32_e32 v17, v11, v17
	s_delay_alu instid0(VALU_DEP_4) | instskip(SKIP_1) | instid1(VALU_DEP_4)
	v_fmac_f32_e32 v11, -0.5, v2
	v_sub_f32_e32 v2, v16, v22
	v_fmamk_f32 v16, v3, 0x3f5db3d7, v10
	s_wait_dscnt 0x0
	v_dual_add_f32 v22, v18, v34 :: v_dual_add_f32 v27, v17, v23
	s_delay_alu instid0(VALU_DEP_3) | instskip(SKIP_1) | instid1(VALU_DEP_3)
	v_dual_fmac_f32 v10, 0xbf5db3d7, v3 :: v_dual_fmamk_f32 v17, v2, 0xbf5db3d7, v11
	v_add_f32_e32 v3, v0, v18
	v_fma_f32 v0, -0.5, v22, v0
	v_sub_f32_e32 v22, v19, v35
	v_add_f32_e32 v23, v19, v35
	v_fmac_f32_e32 v11, 0x3f5db3d7, v2
	v_dual_add_f32 v2, v3, v34 :: v_dual_add_f32 v3, v1, v19
	s_delay_alu instid0(VALU_DEP_3) | instskip(SKIP_1) | instid1(VALU_DEP_3)
	v_dual_fmamk_f32 v56, v22, 0x3f5db3d7, v0 :: v_dual_fmac_f32 v1, -0.5, v23
	v_sub_f32_e32 v18, v18, v34
	v_dual_fmac_f32 v0, 0xbf5db3d7, v22 :: v_dual_add_f32 v3, v3, v35
	v_dual_add_f32 v19, v4, v6 :: v_dual_add_f32 v22, v6, v32
	s_delay_alu instid0(VALU_DEP_3) | instskip(SKIP_1) | instid1(VALU_DEP_3)
	v_fmamk_f32 v57, v18, 0xbf5db3d7, v1
	v_dual_fmac_f32 v1, 0x3f5db3d7, v18 :: v_dual_add_f32 v18, v7, v33
	v_add_f32_e32 v58, v19, v32
	s_delay_alu instid0(VALU_DEP_4) | instskip(SKIP_3) | instid1(VALU_DEP_4)
	v_dual_fmac_f32 v4, -0.5, v22 :: v_dual_sub_f32 v19, v7, v33
	v_mul_lo_u16 v22, v160, 3
	v_add_f32_e32 v7, v5, v7
	v_dual_fmac_f32 v5, -0.5, v18 :: v_dual_sub_f32 v18, v6, v32
	v_fmamk_f32 v6, v19, 0x3f5db3d7, v4
	v_fmac_f32_e32 v4, 0xbf5db3d7, v19
	v_and_b32_e32 v19, 0xffff, v22
	v_add_co_u32 v85, null, 0xd8, v160
	v_add_f32_e32 v59, v7, v33
	v_fmamk_f32 v7, v18, 0xbf5db3d7, v5
	v_fmac_f32_e32 v5, 0x3f5db3d7, v18
	v_mul_u32_u24_e32 v18, 3, v84
	v_lshlrev_b32_e32 v166, 3, v19
	v_add_co_u32 v42, null, 0x21c, v160
	global_wb scope:SCOPE_SE
	s_wait_kmcnt 0x0
	s_barrier_signal -1
	s_barrier_wait -1
	global_inv scope:SCOPE_SE
	v_lshlrev_b32_e32 v165, 3, v18
	v_mul_u32_u24_e32 v18, 3, v85
	ds_store_2addr_b64 v166, v[36:37], v[28:29] offset1:1
	ds_store_b64 v166, v[12:13] offset:16
	v_mul_u32_u24_e32 v12, 3, v40
	v_mul_u32_u24_e32 v13, 3, v41
	;; [unrolled: 1-line block ×3, first 2 shown]
	v_lshlrev_b32_e32 v170, 3, v18
	ds_store_2addr_b64 v165, v[38:39], v[24:25] offset1:1
	ds_store_b64 v165, v[14:15] offset:16
	v_lshlrev_b32_e32 v169, 3, v12
	v_lshlrev_b32_e32 v167, 3, v13
	ds_store_2addr_b64 v170, v[30:31], v[20:21] offset1:1
	ds_store_b64 v170, v[8:9] offset:16
	ds_store_2addr_b64 v169, v[26:27], v[16:17] offset1:1
	ds_store_b64 v169, v[10:11] offset:16
	;; [unrolled: 2-line block ×3, first 2 shown]
	s_and_saveexec_b32 s0, vcc_lo
	s_cbranch_execz .LBB0_7
; %bb.6:
	v_lshlrev_b32_e32 v8, 3, v168
	ds_store_2addr_b64 v8, v[58:59], v[6:7] offset1:1
	ds_store_b64 v8, v[4:5] offset:16
.LBB0_7:
	s_wait_alu 0xfffe
	s_or_b32 exec_lo, exec_lo, s0
	v_add_nc_u32_e32 v8, 0x800, v159
	v_add_nc_u32_e32 v9, 0x1000, v159
	;; [unrolled: 1-line block ×5, first 2 shown]
	global_wb scope:SCOPE_SE
	s_wait_dscnt 0x0
	s_barrier_signal -1
	s_barrier_wait -1
	global_inv scope:SCOPE_SE
	ds_load_2addr_b64 v[32:35], v159 offset1:108
	ds_load_2addr_b64 v[52:55], v8 offset0:32 offset1:140
	ds_load_2addr_b64 v[48:51], v9 offset0:64 offset1:172
	;; [unrolled: 1-line block ×5, first 2 shown]
	v_cmp_gt_u16_e64 s0, 0x48, v160
	s_delay_alu instid0(VALU_DEP_1)
	s_and_saveexec_b32 s1, s0
	s_cbranch_execz .LBB0_9
; %bb.8:
	ds_load_b64 v[2:3], v159 offset:1728
	ds_load_b64 v[56:57], v159 offset:4032
	;; [unrolled: 1-line block ×6, first 2 shown]
.LBB0_9:
	s_wait_alu 0xfffe
	s_or_b32 exec_lo, exec_lo, s1
	v_and_b32_e32 v86, 0xff, v160
	v_and_b32_e32 v87, 0xff, v84
	s_delay_alu instid0(VALU_DEP_2) | instskip(NEXT) | instid1(VALU_DEP_1)
	v_mul_lo_u16 v8, 0xab, v86
	v_lshrrev_b16 v62, 9, v8
	s_delay_alu instid0(VALU_DEP_3) | instskip(NEXT) | instid1(VALU_DEP_2)
	v_mul_lo_u16 v8, 0xab, v87
	v_mul_lo_u16 v9, v62, 3
	s_delay_alu instid0(VALU_DEP_2) | instskip(NEXT) | instid1(VALU_DEP_2)
	v_lshrrev_b16 v63, 9, v8
	v_sub_nc_u16 v8, v160, v9
	s_delay_alu instid0(VALU_DEP_2) | instskip(NEXT) | instid1(VALU_DEP_2)
	v_mul_lo_u16 v9, v63, 3
	v_and_b32_e32 v65, 0xff, v8
	s_delay_alu instid0(VALU_DEP_2) | instskip(NEXT) | instid1(VALU_DEP_2)
	v_sub_nc_u16 v11, v84, v9
	v_mad_co_u64_u32 v[8:9], null, v65, 40, s[2:3]
	s_clause 0x1
	global_load_b128 v[28:31], v[8:9], off
	global_load_b128 v[24:27], v[8:9], off offset:16
	v_and_b32_e32 v88, 0xffff, v85
	v_and_b32_e32 v67, 0xff, v11
	s_delay_alu instid0(VALU_DEP_2) | instskip(NEXT) | instid1(VALU_DEP_1)
	v_mul_u32_u24_e32 v10, 0xaaab, v88
	v_lshrrev_b32_e32 v64, 17, v10
	s_delay_alu instid0(VALU_DEP_1) | instskip(NEXT) | instid1(VALU_DEP_1)
	v_mul_lo_u16 v10, v64, 3
	v_sub_nc_u16 v66, v85, v10
	s_delay_alu instid0(VALU_DEP_1) | instskip(SKIP_1) | instid1(VALU_DEP_2)
	v_mul_lo_u16 v12, v66, 40
	v_mad_u16 v162, v64, 18, v66
	v_and_b32_e32 v12, 0xffff, v12
	s_delay_alu instid0(VALU_DEP_1)
	v_add_co_u32 v60, s1, s2, v12
	s_wait_alu 0xf1ff
	v_add_co_ci_u32_e64 v61, null, s3, 0, s1
	s_wait_loadcnt_dscnt 0x2
	v_mul_f32_e32 v64, v45, v25
	v_mad_co_u64_u32 v[10:11], null, v67, 40, s[2:3]
	s_clause 0x6
	global_load_b64 v[147:148], v[8:9], off offset:32
	global_load_b128 v[20:23], v[10:11], off
	global_load_b128 v[16:19], v[10:11], off offset:16
	global_load_b64 v[145:146], v[10:11], off offset:32
	global_load_b128 v[12:15], v[60:61], off
	global_load_b128 v[8:11], v[60:61], off offset:16
	global_load_b64 v[143:144], v[60:61], off offset:32
	v_and_b32_e32 v61, 0xffff, v63
	v_and_b32_e32 v60, 0xffff, v62
	v_mul_f32_e32 v62, v49, v31
	v_mul_f32_e32 v63, v48, v31
	s_wait_dscnt 0x1
	v_mul_f32_e32 v66, v41, v27
	global_wb scope:SCOPE_SE
	s_wait_loadcnt_dscnt 0x0
	s_barrier_signal -1
	v_fma_f32 v48, v48, v30, -v62
	s_barrier_wait -1
	global_inv scope:SCOPE_SE
	v_mul_f32_e32 v69, v36, v148
	v_mul_f32_e32 v68, v37, v148
	v_mul_u32_u24_e32 v61, 18, v61
	v_dual_mul_f32 v70, v55, v21 :: v_dual_mul_f32 v73, v50, v23
	v_dual_mul_f32 v82, v1, v15 :: v_dual_mul_f32 v89, v59, v9
	s_delay_alu instid0(VALU_DEP_3)
	v_add_lshl_u32 v163, v61, v67, 3
	v_mul_f32_e32 v67, v40, v27
	v_mul_u32_u24_e32 v60, 18, v60
	v_dual_mul_f32 v83, v0, v15 :: v_dual_mul_f32 v90, v58, v9
	v_mul_f32_e32 v61, v52, v29
	v_dual_mul_f32 v71, v54, v21 :: v_dual_mul_f32 v72, v51, v23
	s_delay_alu instid0(VALU_DEP_4)
	v_add_lshl_u32 v164, v60, v65, 3
	v_mul_f32_e32 v60, v53, v29
	v_mul_f32_e32 v65, v44, v25
	v_dual_mul_f32 v74, v47, v17 :: v_dual_mul_f32 v77, v42, v19
	v_dual_mul_f32 v75, v46, v17 :: v_dual_mul_f32 v76, v43, v19
	;; [unrolled: 1-line block ×6, first 2 shown]
	v_fma_f32 v52, v52, v28, -v60
	v_dual_fmac_f32 v63, v49, v30 :: v_dual_fmac_f32 v90, v59, v8
	v_fma_f32 v44, v44, v24, -v64
	v_fma_f32 v40, v40, v26, -v66
	v_fmac_f32_e32 v67, v41, v26
	v_fma_f32 v36, v36, v147, -v68
	v_fmac_f32_e32 v69, v37, v147
	v_fmac_f32_e32 v73, v51, v22
	v_fmac_f32_e32 v65, v45, v24
	v_fma_f32 v0, v0, v14, -v82
	v_dual_fmac_f32 v61, v53, v28 :: v_dual_fmac_f32 v92, v7, v10
	v_fma_f32 v37, v54, v20, -v70
	v_dual_fmac_f32 v71, v55, v20 :: v_dual_fmac_f32 v94, v5, v143
	v_fma_f32 v41, v50, v22, -v72
	v_fma_f32 v45, v46, v16, -v74
	;; [unrolled: 1-line block ×3, first 2 shown]
	v_fmac_f32_e32 v77, v43, v18
	v_fma_f32 v38, v38, v145, -v78
	v_fmac_f32_e32 v79, v39, v145
	v_fma_f32 v39, v56, v12, -v80
	v_add_f32_e32 v56, v41, v42
	v_dual_fmac_f32 v83, v1, v14 :: v_dual_add_f32 v66, v2, v0
	v_fma_f32 v1, v58, v8, -v89
	v_fma_f32 v6, v6, v10, -v91
	;; [unrolled: 1-line block ×3, first 2 shown]
	v_dual_add_f32 v5, v32, v48 :: v_dual_add_f32 v60, v37, v45
	v_dual_add_f32 v7, v48, v40 :: v_dual_add_f32 v62, v45, v38
	v_add_f32_e32 v46, v33, v63
	v_sub_f32_e32 v48, v48, v40
	v_dual_add_f32 v49, v52, v44 :: v_dual_add_f32 v72, v3, v83
	v_add_f32_e32 v50, v44, v36
	v_add_f32_e32 v58, v35, v73
	v_dual_fmac_f32 v75, v47, v16 :: v_dual_add_f32 v54, v65, v69
	v_fmac_f32_e32 v81, v57, v12
	v_dual_add_f32 v47, v63, v67 :: v_dual_sub_f32 v74, v0, v6
	v_dual_sub_f32 v43, v63, v67 :: v_dual_add_f32 v68, v0, v6
	v_dual_sub_f32 v51, v65, v69 :: v_dual_sub_f32 v70, v83, v92
	v_dual_add_f32 v53, v61, v65 :: v_dual_sub_f32 v76, v90, v94
	v_dual_sub_f32 v44, v44, v36 :: v_dual_sub_f32 v57, v73, v77
	v_dual_add_f32 v80, v90, v94 :: v_dual_add_f32 v59, v73, v77
	v_dual_fmac_f32 v52, -0.5, v50 :: v_dual_sub_f32 v63, v75, v79
	v_sub_f32_e32 v82, v1, v4
	v_dual_add_f32 v64, v71, v75 :: v_dual_add_f32 v55, v34, v41
	v_add_f32_e32 v78, v81, v90
	v_dual_sub_f32 v41, v41, v42 :: v_dual_add_f32 v0, v39, v1
	v_add_f32_e32 v65, v75, v79
	v_add_f32_e32 v73, v83, v92
	;; [unrolled: 1-line block ×4, first 2 shown]
	v_fma_f32 v83, -0.5, v7, v32
	v_dual_add_f32 v7, v46, v67 :: v_dual_fmac_f32 v2, -0.5, v68
	v_fma_f32 v46, -0.5, v47, v33
	v_add_f32_e32 v32, v49, v36
	v_dual_sub_f32 v45, v45, v38 :: v_dual_add_f32 v40, v58, v77
	v_dual_add_f32 v33, v53, v69 :: v_dual_add_f32 v50, v0, v4
	v_fmac_f32_e32 v61, -0.5, v54
	v_dual_add_f32 v36, v55, v42 :: v_dual_fmac_f32 v35, -0.5, v59
	v_add_f32_e32 v38, v60, v38
	v_dual_fmac_f32 v37, -0.5, v62 :: v_dual_add_f32 v42, v64, v79
	v_dual_fmac_f32 v71, -0.5, v65 :: v_dual_add_f32 v0, v5, v32
	v_dual_add_f32 v47, v66, v6 :: v_dual_fmamk_f32 v54, v43, 0x3f5db3d7, v83
	s_delay_alu instid0(VALU_DEP_4)
	v_dual_fmac_f32 v39, -0.5, v75 :: v_dual_add_f32 v6, v36, v38
	v_fmac_f32_e32 v83, 0xbf5db3d7, v43
	v_fmamk_f32 v43, v48, 0xbf5db3d7, v46
	v_fmac_f32_e32 v46, 0x3f5db3d7, v48
	v_fmamk_f32 v48, v51, 0x3f5db3d7, v52
	v_fmac_f32_e32 v52, 0xbf5db3d7, v51
	v_fma_f32 v34, -0.5, v56, v34
	v_dual_fmac_f32 v3, -0.5, v73 :: v_dual_sub_f32 v4, v5, v32
	v_dual_add_f32 v53, v78, v94 :: v_dual_fmamk_f32 v56, v41, 0xbf5db3d7, v35
	v_dual_fmac_f32 v81, -0.5, v80 :: v_dual_sub_f32 v32, v36, v38
	v_fmamk_f32 v51, v44, 0xbf5db3d7, v61
	v_fmac_f32_e32 v61, 0x3f5db3d7, v44
	v_dual_add_f32 v1, v7, v33 :: v_dual_fmamk_f32 v58, v74, 0xbf5db3d7, v3
	v_dual_sub_f32 v5, v7, v33 :: v_dual_fmamk_f32 v36, v76, 0x3f5db3d7, v39
	v_fmac_f32_e32 v35, 0x3f5db3d7, v41
	v_dual_add_f32 v7, v40, v42 :: v_dual_fmamk_f32 v38, v82, 0xbf5db3d7, v81
	v_fmac_f32_e32 v39, 0xbf5db3d7, v76
	v_dual_sub_f32 v33, v40, v42 :: v_dual_mul_f32 v42, -0.5, v52
	v_add_f32_e32 v49, v72, v92
	v_fmamk_f32 v41, v63, 0x3f5db3d7, v37
	v_dual_add_f32 v72, v47, v50 :: v_dual_fmamk_f32 v55, v57, 0x3f5db3d7, v34
	v_dual_mul_f32 v40, 0x3f5db3d7, v51 :: v_dual_fmac_f32 v3, 0x3f5db3d7, v74
	v_sub_f32_e32 v74, v47, v50
	v_dual_fmac_f32 v81, 0x3f5db3d7, v82 :: v_dual_fmac_f32 v42, 0x3f5db3d7, v61
	v_fmac_f32_e32 v37, 0xbf5db3d7, v63
	v_fmamk_f32 v44, v45, 0xbf5db3d7, v71
	v_dual_fmac_f32 v71, 0x3f5db3d7, v45 :: v_dual_mul_f32 v60, 0x3f5db3d7, v38
	s_delay_alu instid0(VALU_DEP_4) | instskip(NEXT) | instid1(VALU_DEP_4)
	v_mul_f32_e32 v64, -0.5, v81
	v_mul_f32_e32 v50, -0.5, v37
	v_fmac_f32_e32 v34, 0xbf5db3d7, v57
	v_add_f32_e32 v73, v49, v53
	v_fmamk_f32 v57, v70, 0x3f5db3d7, v2
	v_fmac_f32_e32 v2, 0xbf5db3d7, v70
	v_fmac_f32_e32 v50, 0x3f5db3d7, v71
	v_mul_f32_e32 v63, 0xbf5db3d7, v36
	v_dual_sub_f32 v75, v49, v53 :: v_dual_fmac_f32 v60, 0.5, v36
	v_dual_fmac_f32 v40, 0.5, v48 :: v_dual_mul_f32 v47, -0.5, v61
	s_delay_alu instid0(VALU_DEP_3) | instskip(SKIP_2) | instid1(VALU_DEP_4)
	v_fmac_f32_e32 v63, 0.5, v38
	v_add_f32_e32 v38, v83, v42
	v_sub_f32_e32 v42, v83, v42
	v_add_f32_e32 v36, v54, v40
	v_dual_mul_f32 v62, -0.5, v39 :: v_dual_mul_f32 v49, 0x3f5db3d7, v44
	v_dual_mul_f32 v45, 0xbf5db3d7, v48 :: v_dual_fmac_f32 v64, 0xbf5db3d7, v39
	v_dual_mul_f32 v53, 0xbf5db3d7, v41 :: v_dual_sub_f32 v40, v54, v40
	s_delay_alu instid0(VALU_DEP_3) | instskip(NEXT) | instid1(VALU_DEP_4)
	v_fmac_f32_e32 v62, 0x3f5db3d7, v81
	v_dual_fmac_f32 v49, 0.5, v41 :: v_dual_add_f32 v76, v57, v60
	v_mul_f32_e32 v59, -0.5, v71
	v_fmac_f32_e32 v45, 0.5, v51
	v_fmac_f32_e32 v47, 0xbf5db3d7, v52
	v_dual_fmac_f32 v53, 0.5, v44 :: v_dual_add_f32 v78, v2, v62
	v_add_f32_e32 v44, v55, v49
	v_dual_fmac_f32 v59, 0xbf5db3d7, v37 :: v_dual_sub_f32 v80, v57, v60
	v_sub_f32_e32 v48, v55, v49
	v_dual_add_f32 v37, v43, v45 :: v_dual_sub_f32 v82, v2, v62
	v_add_f32_e32 v77, v58, v63
	v_add_f32_e32 v79, v3, v64
	v_sub_f32_e32 v81, v58, v63
	v_sub_f32_e32 v83, v3, v64
	v_add_f32_e32 v39, v46, v47
	v_sub_f32_e32 v41, v43, v45
	v_sub_f32_e32 v43, v46, v47
	v_dual_add_f32 v45, v56, v53 :: v_dual_add_f32 v46, v34, v50
	v_dual_add_f32 v47, v35, v59 :: v_dual_sub_f32 v34, v34, v50
	v_sub_f32_e32 v49, v56, v53
	v_sub_f32_e32 v35, v35, v59
	ds_store_2addr_b64 v164, v[0:1], v[36:37] offset1:3
	ds_store_2addr_b64 v164, v[38:39], v[4:5] offset0:6 offset1:9
	ds_store_2addr_b64 v164, v[40:41], v[42:43] offset0:12 offset1:15
	ds_store_2addr_b64 v163, v[6:7], v[44:45] offset1:3
	ds_store_2addr_b64 v163, v[46:47], v[32:33] offset0:6 offset1:9
	ds_store_2addr_b64 v163, v[48:49], v[34:35] offset0:12 offset1:15
	s_and_saveexec_b32 s1, s0
	s_cbranch_execz .LBB0_11
; %bb.10:
	v_and_b32_e32 v0, 0xffff, v162
	s_delay_alu instid0(VALU_DEP_1)
	v_lshlrev_b32_e32 v0, 3, v0
	ds_store_2addr_b64 v0, v[72:73], v[76:77] offset1:3
	ds_store_2addr_b64 v0, v[78:79], v[74:75] offset0:6 offset1:9
	ds_store_2addr_b64 v0, v[80:81], v[82:83] offset0:12 offset1:15
.LBB0_11:
	s_wait_alu 0xfffe
	s_or_b32 exec_lo, exec_lo, s1
	v_add_nc_u32_e32 v0, 0x800, v159
	v_add_nc_u32_e32 v1, 0x1000, v159
	;; [unrolled: 1-line block ×5, first 2 shown]
	global_wb scope:SCOPE_SE
	s_wait_dscnt 0x0
	s_barrier_signal -1
	s_barrier_wait -1
	global_inv scope:SCOPE_SE
	ds_load_2addr_b64 v[48:51], v159 offset1:108
	ds_load_2addr_b64 v[68:71], v0 offset0:32 offset1:140
	ds_load_2addr_b64 v[64:67], v1 offset0:64 offset1:172
	;; [unrolled: 1-line block ×5, first 2 shown]
	s_and_saveexec_b32 s1, s0
	s_cbranch_execz .LBB0_13
; %bb.12:
	ds_load_b64 v[72:73], v159 offset:1728
	ds_load_b64 v[76:77], v159 offset:4032
	;; [unrolled: 1-line block ×6, first 2 shown]
.LBB0_13:
	s_wait_alu 0xfffe
	s_or_b32 exec_lo, exec_lo, s1
	v_mul_lo_u16 v0, v86, 57
	v_mul_u32_u24_e32 v2, 0xe38f, v88
	s_delay_alu instid0(VALU_DEP_2) | instskip(SKIP_1) | instid1(VALU_DEP_3)
	v_lshrrev_b16 v86, 10, v0
	v_mul_lo_u16 v0, v87, 57
	v_lshrrev_b32_e32 v88, 20, v2
	s_delay_alu instid0(VALU_DEP_3) | instskip(NEXT) | instid1(VALU_DEP_3)
	v_mul_lo_u16 v1, v86, 18
	v_lshrrev_b16 v87, 10, v0
	s_delay_alu instid0(VALU_DEP_3) | instskip(NEXT) | instid1(VALU_DEP_3)
	v_mul_lo_u16 v2, v88, 18
	v_sub_nc_u16 v0, v160, v1
	s_delay_alu instid0(VALU_DEP_3) | instskip(NEXT) | instid1(VALU_DEP_3)
	v_mul_lo_u16 v1, v87, 18
	v_sub_nc_u16 v90, v85, v2
	s_delay_alu instid0(VALU_DEP_3) | instskip(NEXT) | instid1(VALU_DEP_3)
	v_and_b32_e32 v89, 0xff, v0
	v_sub_nc_u16 v3, v84, v1
	s_delay_alu instid0(VALU_DEP_3) | instskip(SKIP_1) | instid1(VALU_DEP_4)
	v_mul_lo_u16 v4, v90, 40
	v_mad_u16 v171, 0x6c, v88, v90
	v_mad_co_u64_u32 v[0:1], null, v89, 40, s[2:3]
	s_clause 0x1
	global_load_b128 v[44:47], v[0:1], off offset:120
	global_load_b128 v[40:43], v[0:1], off offset:136
	v_and_b32_e32 v91, 0xff, v3
	v_and_b32_e32 v4, 0xffff, v4
	s_delay_alu instid0(VALU_DEP_1)
	v_add_co_u32 v84, s1, s2, v4
	s_wait_alu 0xf1ff
	v_add_co_ci_u32_e64 v85, null, s3, 0, s1
	s_wait_loadcnt_dscnt 0x2
	v_dual_mul_f32 v92, v64, v47 :: v_dual_mul_f32 v93, v61, v41
	v_mul_f32_e32 v94, v60, v41
	v_mad_co_u64_u32 v[2:3], null, v91, 40, s[2:3]
	v_mul_f32_e32 v90, v68, v45
	s_delay_alu instid0(VALU_DEP_4)
	v_fma_f32 v60, v60, v40, -v93
	s_clause 0x6
	global_load_b64 v[151:152], v[0:1], off offset:152
	global_load_b128 v[36:39], v[2:3], off offset:120
	global_load_b128 v[32:35], v[2:3], off offset:136
	global_load_b64 v[149:150], v[2:3], off offset:152
	global_load_b128 v[4:7], v[84:85], off offset:120
	global_load_b128 v[0:3], v[84:85], off offset:136
	global_load_b64 v[141:142], v[84:85], off offset:152
	v_and_b32_e32 v85, 0xffff, v87
	v_and_b32_e32 v84, 0xffff, v86
	s_wait_dscnt 0x1
	v_mul_f32_e32 v96, v56, v43
	v_mul_f32_e32 v95, v57, v43
	global_wb scope:SCOPE_SE
	s_wait_loadcnt_dscnt 0x0
	s_barrier_signal -1
	s_barrier_wait -1
	global_inv scope:SCOPE_SE
	v_fmac_f32_e32 v90, v69, v44
	v_mul_f32_e32 v98, v52, v152
	v_mul_f32_e32 v100, v70, v37
	v_mul_u32_u24_e32 v85, 0x6c, v85
	v_mul_f32_e32 v97, v53, v152
	v_dual_mul_f32 v99, v71, v37 :: v_dual_mul_f32 v102, v66, v39
	v_dual_mul_f32 v101, v67, v39 :: v_dual_mul_f32 v104, v62, v33
	s_delay_alu instid0(VALU_DEP_4) | instskip(SKIP_4) | instid1(VALU_DEP_3)
	v_add_lshl_u32 v172, v85, v91, 3
	v_mul_f32_e32 v91, v65, v47
	v_mul_u32_u24_e32 v84, 0x6c, v84
	v_dual_mul_f32 v103, v63, v33 :: v_dual_mul_f32 v106, v58, v35
	v_dual_mul_f32 v105, v59, v35 :: v_dual_mul_f32 v154, v77, v5
	v_add_lshl_u32 v173, v84, v89, 3
	v_mul_f32_e32 v89, v69, v45
	v_dual_mul_f32 v107, v55, v150 :: v_dual_mul_f32 v84, v76, v5
	v_dual_mul_f32 v153, v54, v150 :: v_dual_mul_f32 v156, v75, v1
	;; [unrolled: 1-line block ×5, first 2 shown]
	v_mul_f32_e32 v85, v80, v3
	v_fma_f32 v64, v64, v46, -v91
	v_fmac_f32_e32 v96, v57, v42
	v_fma_f32 v57, v52, v151, -v97
	v_fma_f32 v89, v68, v44, -v89
	v_dual_fmac_f32 v92, v65, v46 :: v_dual_fmac_f32 v153, v55, v149
	v_dual_fmac_f32 v94, v61, v40 :: v_dual_fmac_f32 v87, v79, v6
	v_fma_f32 v61, v56, v42, -v95
	v_fma_f32 v70, v70, v36, -v99
	v_dual_fmac_f32 v100, v71, v36 :: v_dual_fmac_f32 v85, v81, v2
	v_fma_f32 v65, v66, v38, -v101
	v_fma_f32 v62, v62, v32, -v103
	v_fmac_f32_e32 v104, v63, v32
	v_fma_f32 v58, v58, v34, -v105
	v_dual_fmac_f32 v106, v59, v34 :: v_dual_add_f32 v71, v89, v60
	v_fma_f32 v59, v54, v149, -v107
	v_fma_f32 v54, v78, v6, -v155
	;; [unrolled: 1-line block ×3, first 2 shown]
	v_dual_fmac_f32 v88, v75, v0 :: v_dual_add_f32 v79, v65, v58
	v_fma_f32 v56, v82, v141, -v158
	v_dual_fmac_f32 v86, v83, v141 :: v_dual_sub_f32 v83, v65, v58
	v_dual_add_f32 v63, v48, v64 :: v_dual_fmac_f32 v98, v53, v151
	v_dual_fmac_f32 v102, v67, v38 :: v_dual_add_f32 v69, v92, v96
	v_fma_f32 v53, v80, v2, -v157
	v_dual_add_f32 v74, v60, v57 :: v_dual_sub_f32 v95, v62, v59
	v_fma_f32 v52, v76, v4, -v154
	s_delay_alu instid0(VALU_DEP_4)
	v_dual_add_f32 v66, v64, v61 :: v_dual_add_f32 v81, v51, v102
	v_sub_f32_e32 v67, v92, v96
	v_dual_fmac_f32 v84, v77, v4 :: v_dual_add_f32 v77, v94, v98
	v_add_f32_e32 v68, v49, v92
	v_dual_sub_f32 v64, v64, v61 :: v_dual_add_f32 v91, v62, v59
	v_sub_f32_e32 v75, v94, v98
	v_dual_add_f32 v76, v90, v94 :: v_dual_add_f32 v93, v100, v104
	v_dual_add_f32 v78, v50, v65 :: v_dual_sub_f32 v103, v88, v86
	v_dual_sub_f32 v80, v102, v106 :: v_dual_sub_f32 v97, v87, v85
	v_dual_add_f32 v82, v102, v106 :: v_dual_add_f32 v99, v87, v85
	v_dual_add_f32 v65, v70, v62 :: v_dual_sub_f32 v92, v104, v153
	v_dual_fmac_f32 v89, -0.5, v74 :: v_dual_add_f32 v94, v104, v153
	s_delay_alu instid0(VALU_DEP_3) | instskip(NEXT) | instid1(VALU_DEP_3)
	v_dual_fmac_f32 v51, -0.5, v82 :: v_dual_add_f32 v62, v54, v53
	v_add_f32_e32 v59, v65, v59
	v_dual_sub_f32 v101, v54, v53 :: v_dual_add_f32 v102, v55, v56
	v_dual_add_f32 v104, v88, v86 :: v_dual_add_f32 v61, v63, v61
	v_dual_sub_f32 v60, v60, v57 :: v_dual_sub_f32 v105, v55, v56
	v_fma_f32 v107, -0.5, v66, v48
	v_dual_add_f32 v66, v68, v96 :: v_dual_add_f32 v57, v71, v57
	v_fma_f32 v96, -0.5, v69, v49
	v_dual_add_f32 v68, v76, v98 :: v_dual_add_f32 v69, v93, v153
	v_fmac_f32_e32 v90, -0.5, v77
	s_delay_alu instid0(VALU_DEP_3)
	v_dual_add_f32 v58, v78, v58 :: v_dual_fmamk_f32 v77, v64, 0xbf5db3d7, v96
	v_fma_f32 v78, -0.5, v79, v50
	v_dual_add_f32 v50, v81, v106 :: v_dual_fmamk_f32 v79, v75, 0x3f5db3d7, v89
	v_dual_fmac_f32 v70, -0.5, v91 :: v_dual_add_f32 v63, v66, v68
	v_dual_fmac_f32 v100, -0.5, v94 :: v_dual_fmac_f32 v89, 0xbf5db3d7, v75
	v_fma_f32 v48, -0.5, v62, v72
	v_fma_f32 v49, -0.5, v99, v73
	;; [unrolled: 1-line block ×4, first 2 shown]
	v_dual_fmamk_f32 v76, v67, 0x3f5db3d7, v107 :: v_dual_sub_f32 v65, v66, v68
	v_fmac_f32_e32 v107, 0xbf5db3d7, v67
	v_fmac_f32_e32 v96, 0x3f5db3d7, v64
	v_dual_fmamk_f32 v75, v60, 0xbf5db3d7, v90 :: v_dual_add_f32 v62, v61, v57
	v_dual_fmac_f32 v90, 0x3f5db3d7, v60 :: v_dual_add_f32 v67, v50, v69
	v_dual_sub_f32 v64, v61, v57 :: v_dual_fmamk_f32 v91, v80, 0x3f5db3d7, v78
	v_dual_fmac_f32 v78, 0xbf5db3d7, v80 :: v_dual_sub_f32 v69, v50, v69
	v_fmamk_f32 v94, v83, 0xbf5db3d7, v51
	v_fmac_f32_e32 v51, 0x3f5db3d7, v83
	v_fmamk_f32 v83, v105, 0xbf5db3d7, v74
	v_fmamk_f32 v80, v92, 0x3f5db3d7, v70
	v_dual_fmac_f32 v70, 0xbf5db3d7, v92 :: v_dual_fmamk_f32 v57, v101, 0xbf5db3d7, v49
	v_dual_fmamk_f32 v81, v95, 0xbf5db3d7, v100 :: v_dual_add_f32 v66, v58, v59
	v_dual_fmac_f32 v100, 0x3f5db3d7, v95 :: v_dual_mul_f32 v93, -0.5, v89
	s_delay_alu instid0(VALU_DEP_3)
	v_dual_fmamk_f32 v50, v97, 0x3f5db3d7, v48 :: v_dual_mul_f32 v99, -0.5, v70
	v_fmac_f32_e32 v48, 0xbf5db3d7, v97
	v_fmamk_f32 v82, v103, 0x3f5db3d7, v71
	v_fmac_f32_e32 v71, 0xbf5db3d7, v103
	v_dual_fmac_f32 v74, 0x3f5db3d7, v105 :: v_dual_fmac_f32 v93, 0x3f5db3d7, v90
	v_dual_sub_f32 v68, v58, v59 :: v_dual_mul_f32 v97, -0.5, v90
	v_dual_fmac_f32 v49, 0x3f5db3d7, v101 :: v_dual_mul_f32 v92, 0x3f5db3d7, v75
	s_delay_alu instid0(VALU_DEP_3)
	v_mul_f32_e32 v61, -0.5, v74
	v_dual_mul_f32 v95, 0xbf5db3d7, v79 :: v_dual_mul_f32 v102, -0.5, v100
	v_mul_f32_e32 v98, 0x3f5db3d7, v81
	v_dual_mul_f32 v101, 0xbf5db3d7, v80 :: v_dual_mul_f32 v58, -0.5, v71
	v_mul_f32_e32 v59, 0x3f5db3d7, v83
	v_dual_mul_f32 v60, 0xbf5db3d7, v82 :: v_dual_fmac_f32 v97, 0xbf5db3d7, v89
	v_dual_fmac_f32 v92, 0.5, v79 :: v_dual_fmac_f32 v99, 0x3f5db3d7, v100
	v_dual_fmac_f32 v95, 0.5, v75 :: v_dual_fmac_f32 v98, 0.5, v80
	v_dual_fmac_f32 v101, 0.5, v81 :: v_dual_fmac_f32 v102, 0xbf5db3d7, v70
	v_fmac_f32_e32 v61, 0xbf5db3d7, v71
	v_dual_fmac_f32 v59, 0.5, v82 :: v_dual_fmac_f32 v60, 0.5, v83
	s_delay_alu instid0(VALU_DEP_4)
	v_dual_fmac_f32 v58, 0x3f5db3d7, v74 :: v_dual_add_f32 v71, v77, v95
	v_dual_add_f32 v70, v76, v92 :: v_dual_sub_f32 v77, v77, v95
	v_dual_add_f32 v74, v107, v93 :: v_dual_add_f32 v89, v78, v99
	v_dual_add_f32 v75, v96, v97 :: v_dual_add_f32 v82, v91, v98
	v_dual_sub_f32 v76, v76, v92 :: v_dual_add_f32 v83, v94, v101
	v_dual_sub_f32 v80, v107, v93 :: v_dual_sub_f32 v93, v78, v99
	v_dual_sub_f32 v91, v91, v98 :: v_dual_sub_f32 v92, v94, v101
	v_dual_sub_f32 v94, v51, v102 :: v_dual_sub_f32 v79, v57, v60
	v_dual_sub_f32 v78, v50, v59 :: v_dual_sub_f32 v155, v48, v58
	v_sub_f32_e32 v156, v49, v61
	v_dual_sub_f32 v81, v96, v97 :: v_dual_add_f32 v90, v51, v102
	ds_store_2addr_b64 v173, v[62:63], v[70:71] offset1:18
	ds_store_2addr_b64 v173, v[74:75], v[64:65] offset0:36 offset1:54
	ds_store_2addr_b64 v173, v[76:77], v[80:81] offset0:72 offset1:90
	ds_store_2addr_b64 v172, v[66:67], v[82:83] offset1:18
	ds_store_2addr_b64 v172, v[89:90], v[68:69] offset0:36 offset1:54
	ds_store_2addr_b64 v172, v[91:92], v[93:94] offset0:72 offset1:90
	s_and_saveexec_b32 s1, s0
	s_cbranch_execz .LBB0_15
; %bb.14:
	v_dual_add_f32 v51, v73, v87 :: v_dual_add_f32 v62, v84, v88
	v_add_f32_e32 v54, v72, v54
	v_dual_add_f32 v52, v52, v55 :: v_dual_add_f32 v49, v49, v61
	s_delay_alu instid0(VALU_DEP_3) | instskip(NEXT) | instid1(VALU_DEP_2)
	v_dual_add_f32 v55, v51, v85 :: v_dual_add_f32 v62, v62, v86
	v_dual_add_f32 v63, v54, v53 :: v_dual_add_f32 v64, v52, v56
	v_dual_add_f32 v54, v57, v60 :: v_dual_and_b32 v61, 0xffff, v171
	s_delay_alu instid0(VALU_DEP_3) | instskip(NEXT) | instid1(VALU_DEP_2)
	v_dual_sub_f32 v52, v55, v62 :: v_dual_add_f32 v53, v50, v59
	v_dual_sub_f32 v51, v63, v64 :: v_dual_lshlrev_b32 v50, 3, v61
	v_add_f32_e32 v56, v55, v62
	v_dual_add_f32 v55, v63, v64 :: v_dual_add_f32 v48, v48, v58
	ds_store_2addr_b64 v50, v[55:56], v[53:54] offset1:18
	ds_store_2addr_b64 v50, v[48:49], v[51:52] offset0:36 offset1:54
	ds_store_2addr_b64 v50, v[78:79], v[155:156] offset0:72 offset1:90
.LBB0_15:
	s_wait_alu 0xfffe
	s_or_b32 exec_lo, exec_lo, s1
	v_mad_co_u64_u32 v[76:77], null, 0x78, v160, s[2:3]
	global_wb scope:SCOPE_SE
	s_wait_dscnt 0x0
	s_barrier_signal -1
	s_barrier_wait -1
	global_inv scope:SCOPE_SE
	s_add_nc_u64 s[2:3], s[16:17], 0x3600
	s_clause 0x7
	global_load_b128 v[72:75], v[76:77], off offset:840
	global_load_b128 v[64:67], v[76:77], off offset:856
	;; [unrolled: 1-line block ×7, first 2 shown]
	global_load_b64 v[153:154], v[76:77], off offset:952
	ds_load_2addr_b64 v[86:89], v159 offset1:108
	v_add_nc_u32_e32 v84, 0x400, v159
	v_add_nc_u32_e32 v82, 0x1000, v159
	;; [unrolled: 1-line block ×4, first 2 shown]
	ds_load_2addr_b64 v[102:105], v82 offset0:136 offset1:244
	s_wait_loadcnt_dscnt 0x701
	v_mul_f32_e32 v76, v89, v73
	v_mul_f32_e32 v77, v88, v73
	ds_load_2addr_b64 v[94:97], v84 offset0:88 offset1:196
	v_add_nc_u32_e32 v80, 0xc00, v159
	v_add_nc_u32_e32 v93, 0x2800, v159
	v_fma_f32 v76, v88, v72, -v76
	s_wait_loadcnt_dscnt 0x401
	v_mul_f32_e32 v193, v105, v49
	v_dual_mul_f32 v194, v104, v49 :: v_dual_fmac_f32 v77, v89, v72
	s_wait_dscnt 0x0
	v_mul_f32_e32 v106, v96, v65
	v_mul_f32_e32 v91, v97, v65
	ds_load_2addr_b64 v[98:101], v80 offset0:48 offset1:156
	v_add_nc_u32_e32 v81, 0x2c00, v159
	v_dual_mul_f32 v83, v95, v75 :: v_dual_fmac_f32 v106, v97, v64
	v_fma_f32 v88, v96, v64, -v91
	s_wait_dscnt 0x0
	v_mul_f32_e32 v190, v100, v57
	v_mul_f32_e32 v158, v101, v57
	ds_load_2addr_b64 v[174:177], v92 offset0:96 offset1:204
	ds_load_2addr_b64 v[178:181], v85 offset0:56 offset1:164
	;; [unrolled: 1-line block ×4, first 2 shown]
	v_mul_f32_e32 v192, v102, v59
	v_mul_f32_e32 v107, v99, v67
	;; [unrolled: 1-line block ×3, first 2 shown]
	v_fma_f32 v91, v100, v56, -v158
	v_mul_f32_e32 v157, v98, v67
	v_mul_f32_e32 v191, v103, v59
	v_fma_f32 v89, v98, v66, -v107
	v_fma_f32 v83, v94, v74, -v83
	s_wait_dscnt 0x3
	v_dual_fmac_f32 v190, v101, v56 :: v_dual_mul_f32 v195, v175, v51
	s_wait_loadcnt 0x3
	v_mul_f32_e32 v197, v177, v69
	s_wait_loadcnt_dscnt 0x101
	v_mul_f32_e32 v206, v184, v53
	v_mul_f32_e32 v205, v185, v53
	s_wait_loadcnt_dscnt 0x0
	v_dual_mul_f32 v199, v179, v71 :: v_dual_mul_f32 v210, v188, v154
	v_mul_f32_e32 v207, v187, v55
	v_dual_mul_f32 v196, v174, v51 :: v_dual_mul_f32 v209, v189, v154
	v_fma_f32 v101, v184, v52, -v205
	v_mul_f32_e32 v198, v176, v69
	v_mul_f32_e32 v201, v181, v61
	;; [unrolled: 1-line block ×3, first 2 shown]
	v_dual_mul_f32 v204, v182, v63 :: v_dual_fmac_f32 v157, v99, v66
	v_dual_fmac_f32 v194, v105, v48 :: v_dual_sub_f32 v101, v91, v101
	v_fma_f32 v97, v176, v68, -v197
	v_fmac_f32_e32 v210, v189, v153
	v_fmac_f32_e32 v206, v185, v52
	;; [unrolled: 1-line block ×3, first 2 shown]
	v_fma_f32 v96, v174, v50, -v195
	v_dual_sub_f32 v97, v76, v97 :: v_dual_fmac_f32 v198, v177, v68
	v_fma_f32 v99, v180, v60, -v201
	v_fmac_f32_e32 v196, v175, v50
	v_sub_f32_e32 v177, v194, v210
	v_sub_f32_e32 v175, v190, v206
	v_fmac_f32_e32 v204, v183, v62
	v_mul_f32_e32 v200, v178, v71
	v_mul_f32_e32 v208, v186, v55
	v_dual_sub_f32 v99, v88, v99 :: v_dual_sub_f32 v96, v86, v96
	s_delay_alu instid0(VALU_DEP_4) | instskip(SKIP_2) | instid1(VALU_DEP_4)
	v_dual_sub_f32 v105, v157, v204 :: v_dual_mul_f32 v202, v180, v61
	v_fma_f32 v95, v104, v48, -v193
	v_fma_f32 v180, v194, 2.0, -v177
	v_sub_f32_e32 v177, v99, v177
	v_fmac_f32_e32 v200, v179, v70
	v_fma_f32 v157, v157, 2.0, -v105
	v_dual_sub_f32 v105, v96, v105 :: v_dual_fmac_f32 v192, v103, v58
	v_fma_f32 v103, v188, v153, -v209
	s_delay_alu instid0(VALU_DEP_4)
	v_sub_f32_e32 v107, v90, v200
	v_fmac_f32_e32 v202, v181, v60
	v_fma_f32 v88, v88, 2.0, -v99
	v_fma_f32 v100, v182, v62, -v203
	v_sub_f32_e32 v103, v95, v103
	v_fma_f32 v94, v102, v58, -v191
	v_fma_f32 v98, v178, v70, -v199
	;; [unrolled: 1-line block ×3, first 2 shown]
	v_sub_f32_e32 v100, v89, v100
	v_fma_f32 v95, v95, 2.0, -v103
	v_sub_f32_e32 v174, v77, v198
	v_fma_f32 v91, v91, 2.0, -v101
	v_fma_f32 v179, v190, 2.0, -v175
	v_sub_f32_e32 v175, v97, v175
	v_dual_sub_f32 v95, v88, v95 :: v_dual_fmac_f32 v208, v187, v54
	v_add_f32_e32 v101, v174, v101
	v_fma_f32 v86, v86, 2.0, -v96
	v_fma_f32 v89, v89, 2.0, -v100
	;; [unrolled: 1-line block ×3, first 2 shown]
	v_dual_sub_f32 v158, v192, v208 :: v_dual_fmamk_f32 v183, v177, 0x3f3504f3, v175
	v_fma_f32 v76, v76, 2.0, -v97
	v_sub_f32_e32 v98, v83, v98
	v_fma_f32 v77, v77, 2.0, -v174
	v_sub_f32_e32 v102, v94, v102
	v_fma_f32 v178, v192, 2.0, -v158
	v_dual_sub_f32 v104, v87, v196 :: v_dual_sub_f32 v89, v86, v89
	v_sub_f32_e32 v91, v76, v91
	v_fma_f32 v83, v83, 2.0, -v98
	s_delay_alu instid0(VALU_DEP_4) | instskip(SKIP_3) | instid1(VALU_DEP_4)
	v_dual_sub_f32 v178, v90, v178 :: v_dual_sub_f32 v179, v77, v179
	v_fma_f32 v94, v94, 2.0, -v102
	v_fma_f32 v87, v87, 2.0, -v104
	;; [unrolled: 1-line block ×6, first 2 shown]
	v_sub_f32_e32 v94, v83, v94
	v_dual_sub_f32 v158, v98, v158 :: v_dual_sub_f32 v157, v87, v157
	v_add_f32_e32 v100, v104, v100
	v_fma_f32 v174, v174, 2.0, -v101
	s_delay_alu instid0(VALU_DEP_4) | instskip(NEXT) | instid1(VALU_DEP_4)
	v_fma_f32 v83, v83, 2.0, -v94
	v_dual_fmamk_f32 v181, v158, 0x3f3504f3, v105 :: v_dual_add_f32 v102, v107, v102
	s_delay_alu instid0(VALU_DEP_4) | instskip(SKIP_1) | instid1(VALU_DEP_4)
	v_fma_f32 v104, v104, 2.0, -v100
	v_fma_f32 v97, v97, 2.0, -v175
	v_sub_f32_e32 v83, v185, v83
	v_fma_f32 v99, v99, 2.0, -v177
	v_fma_f32 v107, v107, 2.0, -v102
	v_sub_f32_e32 v176, v106, v202
	v_fma_f32 v186, v87, 2.0, -v157
	v_fma_f32 v187, v77, 2.0, -v179
	v_fmac_f32_e32 v181, 0xbf3504f3, v102
	v_fmamk_f32 v189, v107, 0xbf3504f3, v104
	v_add_f32_e32 v103, v176, v103
	v_fma_f32 v106, v106, 2.0, -v176
	v_fma_f32 v96, v96, 2.0, -v105
	v_fma_f32 v191, v105, 2.0, -v181
	s_delay_alu instid0(VALU_DEP_4) | instskip(NEXT) | instid1(VALU_DEP_4)
	v_fma_f32 v176, v176, 2.0, -v103
	v_sub_f32_e32 v180, v106, v180
	v_fmamk_f32 v184, v103, 0x3f3504f3, v101
	v_fmac_f32_e32 v183, 0xbf3504f3, v103
	v_sub_f32_e32 v103, v186, v86
	v_fma_f32 v98, v98, 2.0, -v158
	v_fmamk_f32 v182, v102, 0x3f3504f3, v100
	v_fmamk_f32 v190, v176, 0xbf3504f3, v174
	v_fma_f32 v77, v106, 2.0, -v180
	s_delay_alu instid0(VALU_DEP_4) | instskip(SKIP_1) | instid1(VALU_DEP_4)
	v_dual_fmac_f32 v184, 0x3f3504f3, v177 :: v_dual_fmac_f32 v189, 0x3f3504f3, v98
	v_fma_f32 v175, v175, 2.0, -v183
	v_fmac_f32_e32 v190, 0x3f3504f3, v99
	v_sub_f32_e32 v102, v91, v180
	v_dual_add_f32 v180, v179, v95 :: v_dual_sub_f32 v95, v90, v76
	v_fmac_f32_e32 v182, 0x3f3504f3, v158
	v_fmamk_f32 v158, v99, 0xbf3504f3, v97
	v_sub_f32_e32 v106, v89, v178
	v_fma_f32 v193, v104, 2.0, -v189
	v_fmamk_f32 v76, v183, 0x3f6c835e, v181
	v_fma_f32 v192, v100, 2.0, -v182
	v_fmac_f32_e32 v158, 0xbf3504f3, v176
	v_fma_f32 v176, v101, 2.0, -v184
	v_add_f32_e32 v178, v157, v94
	v_sub_f32_e32 v94, v187, v77
	v_fmac_f32_e32 v76, 0xbec3ef15, v184
	s_delay_alu instid0(VALU_DEP_2)
	v_fma_f32 v99, v187, 2.0, -v94
	v_fma_f32 v187, v97, 2.0, -v158
	v_fmamk_f32 v97, v190, 0x3ec3ef15, v189
	v_fma_f32 v105, v91, 2.0, -v102
	v_fmamk_f32 v91, v176, 0xbec3ef15, v192
	v_fmamk_f32 v87, v180, 0x3f3504f3, v178
	v_fma_f32 v177, v157, 2.0, -v178
	v_fmamk_f32 v86, v102, 0x3f3504f3, v106
	v_fmac_f32_e32 v97, 0x3f6c835e, v158
	v_fmac_f32_e32 v91, 0x3f6c835e, v175
	;; [unrolled: 1-line block ×3, first 2 shown]
	v_fma_f32 v157, v179, 2.0, -v180
	v_fmamk_f32 v188, v98, 0xbf3504f3, v96
	v_fma_f32 v179, v185, 2.0, -v83
	v_fma_f32 v185, v186, 2.0, -v103
	;; [unrolled: 1-line block ×3, first 2 shown]
	v_add_f32_e32 v95, v103, v95
	v_fmac_f32_e32 v188, 0xbf3504f3, v107
	v_fma_f32 v107, v89, 2.0, -v106
	v_fmamk_f32 v89, v157, 0xbf3504f3, v177
	v_fmamk_f32 v77, v184, 0x3f6c835e, v182
	;; [unrolled: 1-line block ×3, first 2 shown]
	v_fma_f32 v186, v96, 2.0, -v188
	v_fmamk_f32 v88, v105, 0xbf3504f3, v107
	v_fmac_f32_e32 v89, 0x3f3504f3, v105
	v_fma_f32 v174, v174, 2.0, -v190
	v_dual_fmac_f32 v77, 0x3ec3ef15, v183 :: v_dual_sub_f32 v94, v83, v94
	v_fmamk_f32 v100, v187, 0xbf6c835e, v186
	s_delay_alu instid0(VALU_DEP_3) | instskip(SKIP_1) | instid1(VALU_DEP_3)
	v_dual_sub_f32 v98, v179, v98 :: v_dual_fmamk_f32 v101, v174, 0xbf6c835e, v193
	v_dual_fmamk_f32 v96, v158, 0x3ec3ef15, v188 :: v_dual_sub_f32 v99, v185, v99
	v_fmac_f32_e32 v100, 0xbec3ef15, v174
	v_fmac_f32_e32 v88, 0xbf3504f3, v157
	s_delay_alu instid0(VALU_DEP_4)
	v_fmac_f32_e32 v101, 0x3ec3ef15, v187
	v_fmac_f32_e32 v90, 0xbf6c835e, v176
	;; [unrolled: 1-line block ×4, first 2 shown]
	v_fma_f32 v105, v178, 2.0, -v87
	v_fma_f32 v157, v179, 2.0, -v98
	;; [unrolled: 1-line block ×16, first 2 shown]
	ds_store_2addr_b64 v159, v[157:158], v[178:179] offset1:108
	ds_store_2addr_b64 v84, v[174:175], v[176:177] offset0:88 offset1:196
	ds_store_2addr_b64 v80, v[102:103], v[180:181] offset0:48 offset1:156
	;; [unrolled: 1-line block ×7, first 2 shown]
	global_wb scope:SCOPE_SE
	s_wait_dscnt 0x0
	s_barrier_signal -1
	s_barrier_wait -1
	global_inv scope:SCOPE_SE
	global_load_b64 v[90:91], v[108:109], off offset:13824
	v_lshlrev_b32_e32 v83, 3, v160
	s_clause 0xd
	global_load_b64 v[106:107], v83, s[2:3] offset:864
	global_load_b64 v[157:158], v83, s[2:3] offset:12672
	;; [unrolled: 1-line block ×14, first 2 shown]
	ds_load_2addr_b64 v[86:89], v159 offset1:108
	ds_load_b64 v[210:211], v159 offset:12672
	s_wait_loadcnt_dscnt 0xc00
	v_mul_f32_e32 v215, v211, v158
	v_mul_f32_e32 v94, v87, v91
	;; [unrolled: 1-line block ×4, first 2 shown]
	s_delay_alu instid0(VALU_DEP_3) | instskip(NEXT) | instid1(VALU_DEP_3)
	v_fma_f32 v94, v86, v90, -v94
	v_dual_fmac_f32 v95, v87, v90 :: v_dual_add_nc_u32 v86, 0x1400, v159
	v_mul_f32_e32 v87, v89, v107
	v_mul_f32_e32 v107, v210, v158
	v_fmac_f32_e32 v91, v89, v106
	ds_store_b64 v159, v[94:95]
	ds_load_2addr_b64 v[94:97], v80 offset0:48 offset1:192
	ds_load_2addr_b64 v[98:101], v85 offset0:128 offset1:236
	;; [unrolled: 1-line block ×6, first 2 shown]
	v_fma_f32 v90, v88, v106, -v87
	v_fma_f32 v106, v210, v157, -v215
	v_add_nc_u32_e32 v213, 0x800, v159
	v_dual_fmac_f32 v107, v211, v157 :: v_dual_add_nc_u32 v212, 0x2400, v159
	v_add_nc_u32_e32 v214, 0x1e00, v159
	s_wait_loadcnt_dscnt 0xb05
	v_mul_f32_e32 v87, v97, v187
	v_mul_f32_e32 v88, v96, v187
	s_wait_loadcnt_dscnt 0x903
	v_mul_f32_e32 v210, v103, v191
	v_mul_f32_e32 v187, v102, v191
	;; [unrolled: 3-line block ×3, first 2 shown]
	v_mul_f32_e32 v89, v99, v189
	v_mul_f32_e32 v158, v98, v189
	;; [unrolled: 1-line block ×4, first 2 shown]
	s_wait_loadcnt_dscnt 0x501
	v_dual_mul_f32 v216, v105, v197 :: v_dual_mul_f32 v217, v179, v199
	s_wait_loadcnt 0x4
	v_dual_mul_f32 v195, v178, v199 :: v_dual_mul_f32 v218, v177, v201
	v_mul_f32_e32 v193, v104, v197
	s_wait_loadcnt_dscnt 0x200
	v_dual_mul_f32 v219, v183, v203 :: v_dual_mul_f32 v220, v181, v205
	v_mul_f32_e32 v199, v182, v203
	v_mul_f32_e32 v197, v176, v201
	s_wait_loadcnt 0x1
	v_mul_f32_e32 v221, v95, v207
	v_dual_mul_f32 v203, v94, v207 :: v_dual_fmac_f32 v158, v99, v188
	v_mul_f32_e32 v201, v180, v205
	s_wait_loadcnt 0x0
	v_mul_f32_e32 v207, v185, v209
	v_mul_f32_e32 v205, v184, v209
	v_fma_f32 v87, v96, v186, -v87
	v_fmac_f32_e32 v88, v97, v186
	v_fma_f32 v186, v102, v190, -v210
	v_fmac_f32_e32 v187, v103, v190
	v_fma_f32 v190, v174, v194, -v215
	v_fmac_f32_e32 v191, v175, v194
	v_fma_f32 v157, v98, v188, -v89
	v_fma_f32 v188, v100, v192, -v211
	v_fmac_f32_e32 v189, v101, v192
	v_fma_f32 v194, v178, v198, -v217
	v_fmac_f32_e32 v195, v179, v198
	;; [unrolled: 2-line block ×8, first 2 shown]
	ds_store_2addr_b64 v82, v[87:88], v[186:187] offset0:64 offset1:172
	ds_store_2addr_b64 v159, v[90:91], v[190:191] offset0:108 offset1:216
	;; [unrolled: 1-line block ×7, first 2 shown]
	s_and_saveexec_b32 s1, vcc_lo
	s_cbranch_execz .LBB0_17
; %bb.16:
	s_wait_alu 0xfffe
	v_add_co_u32 v81, s2, s2, v83
	s_wait_alu 0xf1ff
	v_add_co_ci_u32_e64 v82, null, s3, 0, s2
	s_clause 0x2
	global_load_b64 v[94:95], v[81:82], off offset:4320
	global_load_b64 v[96:97], v[81:82], off offset:8928
	;; [unrolled: 1-line block ×3, first 2 shown]
	v_add_nc_u32_e32 v100, 0xe0, v159
	ds_load_2addr_stride64_b64 v[87:90], v100 offset0:8 offset1:17
	ds_load_b64 v[98:99], v159 offset:13536
	s_wait_loadcnt_dscnt 0x101
	v_dual_mul_f32 v101, v88, v95 :: v_dual_mul_f32 v102, v90, v97
	v_mul_f32_e32 v83, v87, v95
	v_mul_f32_e32 v95, v89, v97
	s_wait_loadcnt_dscnt 0x0
	v_mul_f32_e32 v97, v99, v82
	v_mul_f32_e32 v91, v98, v82
	v_fma_f32 v82, v87, v94, -v101
	v_fmac_f32_e32 v83, v88, v94
	v_fma_f32 v94, v89, v96, -v102
	v_fmac_f32_e32 v95, v90, v96
	v_fma_f32 v90, v98, v81, -v97
	v_fmac_f32_e32 v91, v99, v81
	ds_store_2addr_stride64_b64 v100, v[82:83], v[94:95] offset0:8 offset1:17
	ds_store_b64 v159, v[90:91] offset:13536
.LBB0_17:
	s_wait_alu 0xfffe
	s_or_b32 exec_lo, exec_lo, s1
	global_wb scope:SCOPE_SE
	s_wait_dscnt 0x0
	s_barrier_signal -1
	s_barrier_wait -1
	global_inv scope:SCOPE_SE
	ds_load_2addr_b64 v[88:91], v159 offset1:108
	ds_load_2addr_b64 v[80:83], v80 offset0:48 offset1:192
	ds_load_2addr_b64 v[104:107], v85 offset0:128 offset1:236
	ds_load_2addr_b64 v[100:103], v86 offset0:44 offset1:152
	ds_load_2addr_b64 v[84:87], v84 offset0:88 offset1:196
	ds_load_2addr_b64 v[96:99], v93 offset0:88 offset1:196
	ds_load_2addr_b64 v[92:95], v92 offset0:132 offset1:240
	ds_load_b64 v[157:158], v159 offset:12672
	s_and_saveexec_b32 s1, vcc_lo
	s_cbranch_execz .LBB0_19
; %bb.18:
	v_add_nc_u32_e32 v76, 0xe0, v159
	ds_load_2addr_stride64_b64 v[76:79], v76 offset0:8 offset1:17
	ds_load_b64 v[155:156], v159 offset:13536
.LBB0_19:
	s_wait_alu 0xfffe
	s_or_b32 exec_lo, exec_lo, s1
	s_wait_dscnt 0x5
	v_dual_add_f32 v174, v82, v104 :: v_dual_add_f32 v175, v88, v82
	v_sub_f32_e32 v176, v83, v105
	v_add_f32_e32 v177, v83, v105
	v_add_f32_e32 v83, v89, v83
	s_delay_alu instid0(VALU_DEP_4)
	v_fma_f32 v88, -0.5, v174, v88
	v_sub_f32_e32 v174, v82, v104
	s_wait_dscnt 0x4
	v_dual_add_f32 v82, v175, v104 :: v_dual_add_f32 v175, v100, v106
	v_fma_f32 v89, -0.5, v177, v89
	v_dual_fmamk_f32 v104, v176, 0xbf5db3d7, v88 :: v_dual_add_f32 v83, v83, v105
	v_fmac_f32_e32 v88, 0x3f5db3d7, v176
	v_dual_add_f32 v176, v90, v100 :: v_dual_add_f32 v177, v101, v107
	s_delay_alu instid0(VALU_DEP_4) | instskip(SKIP_2) | instid1(VALU_DEP_4)
	v_fmamk_f32 v105, v174, 0x3f5db3d7, v89
	v_fmac_f32_e32 v89, 0xbf5db3d7, v174
	v_fma_f32 v90, -0.5, v175, v90
	v_dual_add_f32 v174, v176, v106 :: v_dual_sub_f32 v175, v101, v107
	v_dual_sub_f32 v106, v100, v106 :: v_dual_add_f32 v101, v91, v101
	s_wait_dscnt 0x3
	v_dual_fmac_f32 v91, -0.5, v177 :: v_dual_add_f32 v176, v84, v102
	s_delay_alu instid0(VALU_DEP_3)
	v_fmamk_f32 v100, v175, 0xbf5db3d7, v90
	v_fmac_f32_e32 v90, 0x3f5db3d7, v175
	v_add_f32_e32 v175, v101, v107
	s_wait_dscnt 0x2
	v_add_f32_e32 v107, v102, v96
	v_dual_fmamk_f32 v101, v106, 0x3f5db3d7, v91 :: v_dual_add_f32 v176, v176, v96
	v_dual_fmac_f32 v91, 0xbf5db3d7, v106 :: v_dual_sub_f32 v102, v102, v96
	v_add_f32_e32 v106, v103, v97
	s_delay_alu instid0(VALU_DEP_4)
	v_fma_f32 v84, -0.5, v107, v84
	v_sub_f32_e32 v107, v103, v97
	v_add_f32_e32 v103, v85, v103
	global_wb scope:SCOPE_SE
	s_wait_dscnt 0x0
	v_fma_f32 v85, -0.5, v106, v85
	v_add_f32_e32 v106, v86, v92
	v_fmamk_f32 v96, v107, 0xbf5db3d7, v84
	v_dual_fmac_f32 v84, 0x3f5db3d7, v107 :: v_dual_add_f32 v177, v103, v97
	s_delay_alu instid0(VALU_DEP_4)
	v_fmamk_f32 v97, v102, 0x3f5db3d7, v85
	v_fmac_f32_e32 v85, 0xbf5db3d7, v102
	v_dual_add_f32 v107, v93, v99 :: v_dual_add_f32 v102, v106, v98
	v_add_f32_e32 v106, v80, v94
	v_add_f32_e32 v103, v92, v98
	v_sub_f32_e32 v98, v92, v98
	s_barrier_signal -1
	s_barrier_wait -1
	v_add_f32_e32 v106, v106, v157
	v_fma_f32 v86, -0.5, v103, v86
	v_sub_f32_e32 v103, v93, v99
	v_add_f32_e32 v93, v87, v93
	v_fmac_f32_e32 v87, -0.5, v107
	global_inv scope:SCOPE_SE
	v_fmamk_f32 v92, v103, 0xbf5db3d7, v86
	v_fmac_f32_e32 v86, 0x3f5db3d7, v103
	v_add_f32_e32 v103, v93, v99
	v_add_f32_e32 v99, v94, v157
	v_sub_f32_e32 v94, v94, v157
	s_delay_alu instid0(VALU_DEP_2) | instskip(SKIP_4) | instid1(VALU_DEP_1)
	v_fma_f32 v80, -0.5, v99, v80
	v_sub_f32_e32 v99, v95, v158
	v_fmamk_f32 v93, v98, 0x3f5db3d7, v87
	v_fmac_f32_e32 v87, 0xbf5db3d7, v98
	v_dual_add_f32 v98, v95, v158 :: v_dual_add_f32 v95, v81, v95
	v_fmac_f32_e32 v81, -0.5, v98
	s_delay_alu instid0(VALU_DEP_2) | instskip(SKIP_1) | instid1(VALU_DEP_3)
	v_add_f32_e32 v107, v95, v158
	v_dual_add_f32 v95, v78, v155 :: v_dual_add_f32 v98, v76, v78
	v_fmamk_f32 v158, v94, 0x3f5db3d7, v81
	v_dual_fmac_f32 v81, 0xbf5db3d7, v94 :: v_dual_add_f32 v94, v79, v156
	s_delay_alu instid0(VALU_DEP_3) | instskip(SKIP_1) | instid1(VALU_DEP_3)
	v_dual_fmac_f32 v76, -0.5, v95 :: v_dual_sub_f32 v95, v79, v156
	v_add_f32_e32 v79, v77, v79
	v_dual_fmac_f32 v77, -0.5, v94 :: v_dual_sub_f32 v94, v78, v155
	v_fmamk_f32 v157, v99, 0xbf5db3d7, v80
	s_delay_alu instid0(VALU_DEP_3)
	v_add_f32_e32 v156, v79, v156
	v_fmac_f32_e32 v80, 0x3f5db3d7, v99
	v_dual_add_f32 v155, v98, v155 :: v_dual_fmamk_f32 v78, v95, 0xbf5db3d7, v76
	v_dual_fmac_f32 v76, 0x3f5db3d7, v95 :: v_dual_fmamk_f32 v79, v94, 0x3f5db3d7, v77
	v_fmac_f32_e32 v77, 0xbf5db3d7, v94
	ds_store_2addr_b64 v166, v[82:83], v[104:105] offset1:1
	ds_store_b64 v166, v[88:89] offset:16
	ds_store_2addr_b64 v165, v[174:175], v[100:101] offset1:1
	ds_store_b64 v165, v[90:91] offset:16
	;; [unrolled: 2-line block ×5, first 2 shown]
	s_and_saveexec_b32 s1, vcc_lo
	s_cbranch_execz .LBB0_21
; %bb.20:
	v_lshlrev_b32_e32 v82, 3, v168
	ds_store_2addr_b64 v82, v[155:156], v[78:79] offset1:1
	ds_store_b64 v82, v[76:77] offset:16
.LBB0_21:
	s_wait_alu 0xfffe
	s_or_b32 exec_lo, exec_lo, s1
	v_add_nc_u32_e32 v86, 0x800, v159
	v_add_nc_u32_e32 v87, 0x1000, v159
	;; [unrolled: 1-line block ×5, first 2 shown]
	global_wb scope:SCOPE_SE
	s_wait_dscnt 0x0
	s_barrier_signal -1
	s_barrier_wait -1
	global_inv scope:SCOPE_SE
	ds_load_2addr_b64 v[82:85], v159 offset1:108
	ds_load_2addr_b64 v[102:105], v86 offset0:32 offset1:140
	ds_load_2addr_b64 v[98:101], v87 offset0:64 offset1:172
	;; [unrolled: 1-line block ×5, first 2 shown]
	s_and_saveexec_b32 s1, s0
	s_cbranch_execz .LBB0_23
; %bb.22:
	ds_load_b64 v[106:107], v159 offset:1728
	ds_load_b64 v[157:158], v159 offset:4032
	;; [unrolled: 1-line block ×6, first 2 shown]
.LBB0_23:
	s_wait_alu 0xfffe
	s_or_b32 exec_lo, exec_lo, s1
	s_wait_dscnt 0x3
	v_mul_f32_e32 v166, v31, v99
	v_mul_f32_e32 v31, v31, v98
	;; [unrolled: 1-line block ×4, first 2 shown]
	global_wb scope:SCOPE_SE
	s_wait_dscnt 0x0
	v_fmac_f32_e32 v166, v30, v98
	v_fma_f32 v30, v30, v99, -v31
	v_mul_f32_e32 v31, v27, v91
	v_fmac_f32_e32 v165, v28, v102
	v_fma_f32 v28, v28, v103, -v29
	v_mul_f32_e32 v29, v25, v95
	v_mul_f32_e32 v27, v27, v90
	v_fmac_f32_e32 v31, v26, v90
	v_mul_f32_e32 v25, v25, v94
	v_mul_f32_e32 v90, v148, v86
	v_fmac_f32_e32 v29, v24, v94
	v_fma_f32 v26, v26, v91, -v27
	v_mul_f32_e32 v27, v21, v105
	v_fma_f32 v24, v24, v95, -v25
	v_mul_f32_e32 v25, v148, v87
	v_mul_f32_e32 v21, v21, v104
	;; [unrolled: 1-line block ×3, first 2 shown]
	v_fmac_f32_e32 v27, v20, v104
	v_mul_f32_e32 v95, v9, v156
	v_fmac_f32_e32 v25, v147, v86
	v_fma_f32 v86, v147, v87, -v90
	v_mul_f32_e32 v87, v23, v101
	v_mul_f32_e32 v23, v23, v100
	v_fma_f32 v20, v20, v105, -v21
	v_mul_f32_e32 v21, v17, v97
	v_mul_f32_e32 v17, v17, v96
	v_fmac_f32_e32 v87, v22, v100
	v_fma_f32 v22, v22, v101, -v23
	v_mul_f32_e32 v23, v19, v93
	v_fmac_f32_e32 v21, v16, v96
	v_fma_f32 v90, v16, v97, -v17
	v_mul_f32_e32 v16, v146, v88
	v_fmac_f32_e32 v91, v145, v88
	v_fmac_f32_e32 v23, v18, v92
	v_mul_f32_e32 v9, v9, v155
	s_barrier_signal -1
	v_fma_f32 v88, v145, v89, -v16
	v_mul_f32_e32 v89, v15, v81
	v_mul_f32_e32 v15, v15, v80
	v_fma_f32 v96, v8, v156, -v9
	v_mul_f32_e32 v97, v144, v77
	s_barrier_wait -1
	v_fmac_f32_e32 v89, v14, v80
	v_fma_f32 v80, v14, v81, -v15
	v_mul_f32_e32 v81, v11, v79
	v_mul_f32_e32 v11, v11, v78
	v_fmac_f32_e32 v97, v143, v76
	global_inv scope:SCOPE_SE
	v_fmac_f32_e32 v81, v10, v78
	v_fma_f32 v78, v10, v79, -v11
	v_dual_add_f32 v10, v82, v166 :: v_dual_add_f32 v11, v28, v24
	s_delay_alu instid0(VALU_DEP_1) | instskip(SKIP_1) | instid1(VALU_DEP_2)
	v_dual_add_f32 v14, v10, v31 :: v_dual_mul_f32 v19, v19, v92
	v_add_f32_e32 v10, v83, v30
	v_fma_f32 v92, v18, v93, -v19
	v_fmac_f32_e32 v95, v8, v155
	s_delay_alu instid0(VALU_DEP_3) | instskip(SKIP_1) | instid1(VALU_DEP_2)
	v_dual_mul_f32 v8, v144, v76 :: v_dual_add_f32 v17, v10, v26
	v_mul_f32_e32 v93, v13, v158
	v_fma_f32 v76, v143, v77, -v8
	v_add_f32_e32 v8, v30, v26
	s_delay_alu instid0(VALU_DEP_1) | instskip(SKIP_2) | instid1(VALU_DEP_1)
	v_fma_f32 v19, -0.5, v8, v83
	v_sub_f32_e32 v8, v166, v31
	v_dual_add_f32 v10, v29, v25 :: v_dual_add_f32 v9, v166, v31
	v_fma_f32 v15, -0.5, v9, v82
	s_delay_alu instid0(VALU_DEP_3) | instskip(SKIP_1) | instid1(VALU_DEP_2)
	v_dual_sub_f32 v9, v30, v26 :: v_dual_fmamk_f32 v26, v8, 0x3f5db3d7, v19
	v_fmac_f32_e32 v19, 0xbf5db3d7, v8
	v_fmamk_f32 v16, v9, 0xbf5db3d7, v15
	v_fmac_f32_e32 v15, 0x3f5db3d7, v9
	v_add_f32_e32 v9, v24, v86
	v_mul_f32_e32 v13, v13, v157
	s_delay_alu instid0(VALU_DEP_2) | instskip(SKIP_1) | instid1(VALU_DEP_3)
	v_fmac_f32_e32 v28, -0.5, v9
	v_sub_f32_e32 v9, v29, v25
	v_fma_f32 v94, v12, v158, -v13
	s_delay_alu instid0(VALU_DEP_2)
	v_fmamk_f32 v8, v9, 0x3f5db3d7, v28
	v_fmac_f32_e32 v28, 0xbf5db3d7, v9
	v_fmac_f32_e32 v93, v12, v157
	v_dual_add_f32 v12, v165, v29 :: v_dual_fmac_f32 v165, -0.5, v10
	v_sub_f32_e32 v10, v24, v86
	v_mul_f32_e32 v24, 0xbf5db3d7, v8
	v_mul_f32_e32 v30, 0.5, v8
	s_delay_alu instid0(VALU_DEP_4) | instskip(NEXT) | instid1(VALU_DEP_4)
	v_dual_add_f32 v18, v12, v25 :: v_dual_mul_f32 v25, 0xbf5db3d7, v28
	v_fmamk_f32 v9, v10, 0xbf5db3d7, v165
	v_fmac_f32_e32 v165, 0x3f5db3d7, v10
	v_dual_add_f32 v29, v11, v86 :: v_dual_mul_f32 v28, -0.5, v28
	s_delay_alu instid0(VALU_DEP_4) | instskip(NEXT) | instid1(VALU_DEP_4)
	v_add_f32_e32 v8, v14, v18
	v_fmac_f32_e32 v24, 0.5, v9
	s_delay_alu instid0(VALU_DEP_4) | instskip(SKIP_2) | instid1(VALU_DEP_4)
	v_fmac_f32_e32 v25, -0.5, v165
	v_fmac_f32_e32 v30, 0x3f5db3d7, v9
	v_dual_add_f32 v9, v17, v29 :: v_dual_sub_f32 v14, v14, v18
	v_add_f32_e32 v10, v16, v24
	v_sub_f32_e32 v16, v16, v24
	v_add_f32_e32 v24, v87, v23
	v_add_f32_e32 v12, v15, v25
	v_sub_f32_e32 v18, v15, v25
	v_sub_f32_e32 v15, v17, v29
	v_fmac_f32_e32 v28, 0x3f5db3d7, v165
	v_fma_f32 v29, -0.5, v24, v84
	v_sub_f32_e32 v24, v22, v92
	v_add_f32_e32 v11, v26, v30
	v_sub_f32_e32 v17, v26, v30
	v_dual_add_f32 v25, v84, v87 :: v_dual_add_f32 v26, v22, v92
	v_add_f32_e32 v22, v85, v22
	v_fmamk_f32 v30, v24, 0xbf5db3d7, v29
	v_fmac_f32_e32 v29, 0x3f5db3d7, v24
	v_add_f32_e32 v24, v90, v88
	v_add_f32_e32 v13, v19, v28
	v_dual_sub_f32 v19, v19, v28 :: v_dual_add_f32 v28, v25, v23
	v_fmac_f32_e32 v85, -0.5, v26
	v_sub_f32_e32 v23, v87, v23
	v_dual_add_f32 v31, v22, v92 :: v_dual_add_f32 v22, v21, v91
	v_dual_add_f32 v25, v20, v90 :: v_dual_fmac_f32 v20, -0.5, v24
	s_delay_alu instid0(VALU_DEP_3) | instskip(SKIP_1) | instid1(VALU_DEP_4)
	v_dual_sub_f32 v24, v21, v91 :: v_dual_fmamk_f32 v77, v23, 0x3f5db3d7, v85
	v_add_f32_e32 v21, v27, v21
	v_dual_fmac_f32 v27, -0.5, v22 :: v_dual_sub_f32 v22, v90, v88
	v_fmac_f32_e32 v85, 0xbf5db3d7, v23
	s_delay_alu instid0(VALU_DEP_4) | instskip(SKIP_1) | instid1(VALU_DEP_4)
	v_fmamk_f32 v23, v24, 0x3f5db3d7, v20
	v_fmac_f32_e32 v20, 0xbf5db3d7, v24
	v_dual_add_f32 v26, v21, v91 :: v_dual_fmamk_f32 v21, v22, 0xbf5db3d7, v27
	v_fmac_f32_e32 v27, 0x3f5db3d7, v22
	s_delay_alu instid0(VALU_DEP_3) | instskip(SKIP_2) | instid1(VALU_DEP_3)
	v_dual_mul_f32 v79, 0xbf5db3d7, v23 :: v_dual_mul_f32 v82, 0xbf5db3d7, v20
	v_mul_f32_e32 v84, 0.5, v23
	v_mul_f32_e32 v86, -0.5, v20
	v_dual_add_f32 v20, v28, v26 :: v_dual_fmac_f32 v79, 0.5, v21
	s_delay_alu instid0(VALU_DEP_4) | instskip(NEXT) | instid1(VALU_DEP_4)
	v_fmac_f32_e32 v82, -0.5, v27
	v_fmac_f32_e32 v84, 0x3f5db3d7, v21
	v_dual_sub_f32 v26, v28, v26 :: v_dual_add_f32 v83, v25, v88
	s_delay_alu instid0(VALU_DEP_4)
	v_add_f32_e32 v22, v30, v79
	v_dual_sub_f32 v28, v30, v79 :: v_dual_add_f32 v79, v81, v89
	v_add_f32_e32 v24, v29, v82
	v_add_f32_e32 v23, v77, v84
	v_sub_f32_e32 v30, v29, v82
	v_sub_f32_e32 v29, v77, v84
	v_dual_add_f32 v77, v89, v106 :: v_dual_add_f32 v82, v78, v80
	v_dual_fmac_f32 v106, -0.5, v79 :: v_dual_sub_f32 v79, v80, v78
	v_fmac_f32_e32 v86, 0x3f5db3d7, v27
	v_add_f32_e32 v21, v31, v83
	v_sub_f32_e32 v27, v31, v83
	v_add_f32_e32 v83, v81, v77
	v_add_f32_e32 v77, v80, v107
	v_dual_fmac_f32 v107, -0.5, v82 :: v_dual_sub_f32 v80, v89, v81
	v_fmamk_f32 v82, v79, 0xbf5db3d7, v106
	v_dual_fmac_f32 v106, 0x3f5db3d7, v79 :: v_dual_add_f32 v79, v96, v76
	v_add_f32_e32 v81, v95, v93
	v_sub_f32_e32 v31, v85, v86
	v_fmamk_f32 v87, v80, 0x3f5db3d7, v107
	s_delay_alu instid0(VALU_DEP_3) | instskip(SKIP_4) | instid1(VALU_DEP_2)
	v_dual_fmac_f32 v107, 0xbf5db3d7, v80 :: v_dual_add_f32 v84, v97, v81
	v_add_f32_e32 v25, v85, v86
	v_add_f32_e32 v85, v78, v77
	v_dual_add_f32 v77, v95, v97 :: v_dual_add_f32 v78, v96, v94
	v_dual_fmac_f32 v94, -0.5, v79 :: v_dual_sub_f32 v79, v95, v97
	v_fmac_f32_e32 v93, -0.5, v77
	v_sub_f32_e32 v77, v96, v76
	s_delay_alu instid0(VALU_DEP_3) | instskip(SKIP_2) | instid1(VALU_DEP_4)
	v_dual_add_f32 v89, v76, v78 :: v_dual_fmamk_f32 v80, v79, 0x3f5db3d7, v94
	v_fmac_f32_e32 v94, 0xbf5db3d7, v79
	v_add_f32_e32 v76, v83, v84
	v_dual_sub_f32 v84, v83, v84 :: v_dual_fmamk_f32 v79, v77, 0xbf5db3d7, v93
	v_fmac_f32_e32 v93, 0x3f5db3d7, v77
	v_mul_f32_e32 v86, 0xbf5db3d7, v80
	v_mul_f32_e32 v88, 0xbf5db3d7, v94
	v_dual_mul_f32 v90, 0.5, v80 :: v_dual_mul_f32 v91, -0.5, v94
	s_delay_alu instid0(VALU_DEP_3) | instskip(NEXT) | instid1(VALU_DEP_3)
	v_dual_add_f32 v77, v85, v89 :: v_dual_fmac_f32 v86, 0.5, v79
	v_fmac_f32_e32 v88, -0.5, v93
	s_delay_alu instid0(VALU_DEP_3) | instskip(NEXT) | instid1(VALU_DEP_3)
	v_dual_fmac_f32 v90, 0x3f5db3d7, v79 :: v_dual_fmac_f32 v91, 0x3f5db3d7, v93
	v_dual_sub_f32 v85, v85, v89 :: v_dual_add_f32 v80, v82, v86
	s_delay_alu instid0(VALU_DEP_2) | instskip(NEXT) | instid1(VALU_DEP_3)
	v_dual_add_f32 v78, v106, v88 :: v_dual_add_f32 v81, v87, v90
	v_dual_add_f32 v79, v107, v91 :: v_dual_sub_f32 v82, v82, v86
	v_dual_sub_f32 v86, v106, v88 :: v_dual_sub_f32 v83, v87, v90
	v_sub_f32_e32 v87, v107, v91
	ds_store_2addr_b64 v164, v[8:9], v[10:11] offset1:3
	ds_store_2addr_b64 v164, v[12:13], v[14:15] offset0:6 offset1:9
	ds_store_2addr_b64 v164, v[16:17], v[18:19] offset0:12 offset1:15
	ds_store_2addr_b64 v163, v[20:21], v[22:23] offset1:3
	ds_store_2addr_b64 v163, v[24:25], v[26:27] offset0:6 offset1:9
	ds_store_2addr_b64 v163, v[28:29], v[30:31] offset0:12 offset1:15
	s_and_saveexec_b32 s1, s0
	s_cbranch_execz .LBB0_25
; %bb.24:
	v_and_b32_e32 v8, 0xffff, v162
	s_delay_alu instid0(VALU_DEP_1)
	v_lshlrev_b32_e32 v8, 3, v8
	ds_store_2addr_b64 v8, v[76:77], v[80:81] offset1:3
	ds_store_2addr_b64 v8, v[78:79], v[84:85] offset0:6 offset1:9
	ds_store_2addr_b64 v8, v[82:83], v[86:87] offset0:12 offset1:15
.LBB0_25:
	s_wait_alu 0xfffe
	s_or_b32 exec_lo, exec_lo, s1
	v_add_nc_u32_e32 v12, 0x800, v159
	v_add_nc_u32_e32 v13, 0x1000, v159
	;; [unrolled: 1-line block ×5, first 2 shown]
	global_wb scope:SCOPE_SE
	s_wait_dscnt 0x0
	s_barrier_signal -1
	s_barrier_wait -1
	global_inv scope:SCOPE_SE
	ds_load_2addr_b64 v[8:11], v159 offset1:108
	ds_load_2addr_b64 v[28:31], v12 offset0:32 offset1:140
	ds_load_2addr_b64 v[24:27], v13 offset0:64 offset1:172
	ds_load_2addr_b64 v[20:23], v14 offset0:96 offset1:204
	ds_load_2addr_b64 v[16:19], v15 offset0:128 offset1:236
	ds_load_2addr_b64 v[12:15], v88 offset0:32 offset1:140
	s_and_saveexec_b32 s1, s0
	s_cbranch_execz .LBB0_27
; %bb.26:
	ds_load_b64 v[76:77], v159 offset:1728
	ds_load_b64 v[80:81], v159 offset:4032
	;; [unrolled: 1-line block ×6, first 2 shown]
.LBB0_27:
	s_wait_alu 0xfffe
	s_or_b32 exec_lo, exec_lo, s1
	s_wait_dscnt 0x4
	v_mul_f32_e32 v88, v45, v29
	s_wait_dscnt 0x3
	v_mul_f32_e32 v89, v47, v25
	v_mul_f32_e32 v45, v45, v28
	;; [unrolled: 1-line block ×3, first 2 shown]
	global_wb scope:SCOPE_SE
	s_wait_dscnt 0x0
	v_fmac_f32_e32 v88, v44, v28
	v_fmac_f32_e32 v89, v46, v24
	v_mul_f32_e32 v24, v41, v20
	v_fma_f32 v28, v44, v29, -v45
	v_mul_f32_e32 v29, v41, v21
	v_mul_f32_e32 v41, v43, v17
	v_fma_f32 v25, v46, v25, -v47
	v_fma_f32 v21, v40, v21, -v24
	v_mul_f32_e32 v24, v152, v13
	v_fmac_f32_e32 v29, v40, v20
	v_mul_f32_e32 v20, v43, v16
	v_dual_mul_f32 v40, v37, v31 :: v_dual_fmac_f32 v41, v42, v16
	v_mul_f32_e32 v16, v152, v12
	v_fmac_f32_e32 v24, v151, v12
	v_dual_mul_f32 v12, v37, v30 :: v_dual_mul_f32 v37, v39, v27
	s_delay_alu instid0(VALU_DEP_4) | instskip(NEXT) | instid1(VALU_DEP_4)
	v_fmac_f32_e32 v40, v36, v30
	v_fma_f32 v13, v151, v13, -v16
	v_mul_f32_e32 v16, v39, v26
	s_delay_alu instid0(VALU_DEP_4)
	v_fma_f32 v30, v36, v31, -v12
	v_mul_f32_e32 v31, v33, v23
	v_mul_f32_e32 v12, v33, v22
	v_fma_f32 v17, v42, v17, -v20
	v_fmac_f32_e32 v37, v38, v26
	s_barrier_signal -1
	v_fmac_f32_e32 v31, v32, v22
	v_fma_f32 v22, v32, v23, -v12
	v_mul_f32_e32 v23, v150, v15
	v_fma_f32 v26, v38, v27, -v16
	v_mul_f32_e32 v16, v35, v18
	v_mul_f32_e32 v27, v35, v19
	s_barrier_wait -1
	v_fmac_f32_e32 v23, v149, v14
	global_inv scope:SCOPE_SE
	v_fma_f32 v32, v34, v19, -v16
	v_dual_add_f32 v16, v89, v41 :: v_dual_fmac_f32 v27, v34, v18
	s_delay_alu instid0(VALU_DEP_1) | instskip(SKIP_3) | instid1(VALU_DEP_2)
	v_fma_f32 v19, -0.5, v16, v8
	v_mul_f32_e32 v12, v150, v14
	v_add_f32_e32 v14, v8, v89
	v_sub_f32_e32 v8, v25, v17
	v_add_f32_e32 v16, v14, v41
	v_add_f32_e32 v14, v9, v25
	s_delay_alu instid0(VALU_DEP_3)
	v_fmamk_f32 v18, v8, 0xbf5db3d7, v19
	v_fmac_f32_e32 v19, 0x3f5db3d7, v8
	v_fma_f32 v33, v149, v15, -v12
	v_add_f32_e32 v12, v25, v17
	v_add_f32_e32 v17, v14, v17
	;; [unrolled: 1-line block ×3, first 2 shown]
	s_delay_alu instid0(VALU_DEP_3) | instskip(SKIP_2) | instid1(VALU_DEP_4)
	v_fma_f32 v25, -0.5, v12, v9
	v_sub_f32_e32 v9, v89, v41
	v_add_f32_e32 v12, v29, v24
	v_add_f32_e32 v20, v15, v24
	s_delay_alu instid0(VALU_DEP_3) | instskip(NEXT) | instid1(VALU_DEP_3)
	v_fmamk_f32 v34, v9, 0x3f5db3d7, v25
	v_dual_fmac_f32 v25, 0xbf5db3d7, v9 :: v_dual_fmac_f32 v88, -0.5, v12
	v_sub_f32_e32 v12, v21, v13
	s_delay_alu instid0(VALU_DEP_1) | instskip(SKIP_1) | instid1(VALU_DEP_2)
	v_dual_fmamk_f32 v15, v12, 0xbf5db3d7, v88 :: v_dual_add_f32 v8, v21, v13
	v_add_f32_e32 v14, v28, v21
	v_fmac_f32_e32 v28, -0.5, v8
	v_sub_f32_e32 v8, v29, v24
	s_delay_alu instid0(VALU_DEP_1) | instskip(NEXT) | instid1(VALU_DEP_1)
	v_fmamk_f32 v9, v8, 0x3f5db3d7, v28
	v_mul_f32_e32 v35, 0.5, v9
	v_mul_f32_e32 v21, 0xbf5db3d7, v9
	s_delay_alu instid0(VALU_DEP_2) | instskip(SKIP_1) | instid1(VALU_DEP_3)
	v_fmac_f32_e32 v35, 0x3f5db3d7, v15
	v_dual_add_f32 v29, v14, v13 :: v_dual_fmac_f32 v28, 0xbf5db3d7, v8
	v_fmac_f32_e32 v21, 0.5, v15
	s_delay_alu instid0(VALU_DEP_3) | instskip(NEXT) | instid1(VALU_DEP_3)
	v_add_f32_e32 v13, v34, v35
	v_dual_add_f32 v9, v17, v29 :: v_dual_fmac_f32 v88, 0x3f5db3d7, v12
	s_delay_alu instid0(VALU_DEP_4) | instskip(SKIP_2) | instid1(VALU_DEP_3)
	v_mul_f32_e32 v24, 0xbf5db3d7, v28
	v_dual_mul_f32 v28, -0.5, v28 :: v_dual_sub_f32 v17, v17, v29
	v_dual_add_f32 v29, v10, v37 :: v_dual_add_f32 v8, v16, v20
	v_fmac_f32_e32 v24, -0.5, v88
	v_sub_f32_e32 v16, v16, v20
	s_delay_alu instid0(VALU_DEP_2) | instskip(SKIP_4) | instid1(VALU_DEP_2)
	v_add_f32_e32 v14, v19, v24
	v_sub_f32_e32 v20, v19, v24
	v_add_f32_e32 v24, v37, v27
	v_dual_sub_f32 v19, v34, v35 :: v_dual_fmac_f32 v28, 0x3f5db3d7, v88
	v_add_f32_e32 v12, v18, v21
	v_dual_sub_f32 v18, v18, v21 :: v_dual_sub_f32 v21, v25, v28
	v_add_f32_e32 v15, v25, v28
	v_add_f32_e32 v25, v26, v32
	v_fma_f32 v10, -0.5, v24, v10
	v_sub_f32_e32 v24, v26, v32
	v_add_f32_e32 v28, v29, v27
	s_delay_alu instid0(VALU_DEP_4) | instskip(SKIP_1) | instid1(VALU_DEP_4)
	v_dual_add_f32 v26, v11, v26 :: v_dual_fmac_f32 v11, -0.5, v25
	v_sub_f32_e32 v25, v37, v27
	v_fmamk_f32 v29, v24, 0xbf5db3d7, v10
	v_dual_add_f32 v27, v30, v22 :: v_dual_fmac_f32 v10, 0x3f5db3d7, v24
	v_add_f32_e32 v24, v22, v33
	v_sub_f32_e32 v22, v22, v33
	s_delay_alu instid0(VALU_DEP_3) | instskip(NEXT) | instid1(VALU_DEP_3)
	v_dual_add_f32 v33, v27, v33 :: v_dual_fmamk_f32 v34, v25, 0x3f5db3d7, v11
	v_fmac_f32_e32 v30, -0.5, v24
	v_dual_sub_f32 v24, v31, v23 :: v_dual_fmac_f32 v11, 0xbf5db3d7, v25
	s_delay_alu instid0(VALU_DEP_1) | instskip(NEXT) | instid1(VALU_DEP_1)
	v_fmamk_f32 v25, v24, 0x3f5db3d7, v30
	v_dual_mul_f32 v35, 0xbf5db3d7, v25 :: v_dual_add_f32 v32, v26, v32
	v_dual_mul_f32 v37, 0.5, v25 :: v_dual_add_f32 v26, v31, v23
	s_delay_alu instid0(VALU_DEP_1) | instskip(NEXT) | instid1(VALU_DEP_1)
	v_dual_add_f32 v31, v40, v31 :: v_dual_fmac_f32 v40, -0.5, v26
	v_add_f32_e32 v31, v31, v23
	s_delay_alu instid0(VALU_DEP_2) | instskip(SKIP_1) | instid1(VALU_DEP_3)
	v_fmamk_f32 v23, v22, 0xbf5db3d7, v40
	v_fmac_f32_e32 v40, 0x3f5db3d7, v22
	v_add_f32_e32 v22, v28, v31
	v_sub_f32_e32 v28, v28, v31
	s_delay_alu instid0(VALU_DEP_4) | instskip(SKIP_2) | instid1(VALU_DEP_2)
	v_fmac_f32_e32 v37, 0x3f5db3d7, v23
	v_dual_fmac_f32 v30, 0xbf5db3d7, v24 :: v_dual_fmac_f32 v35, 0.5, v23
	v_add_f32_e32 v23, v32, v33
	v_dual_add_f32 v25, v34, v37 :: v_dual_mul_f32 v38, -0.5, v30
	s_delay_alu instid0(VALU_DEP_3) | instskip(NEXT) | instid1(VALU_DEP_2)
	v_dual_add_f32 v24, v29, v35 :: v_dual_sub_f32 v31, v34, v37
	v_fmac_f32_e32 v38, 0x3f5db3d7, v40
	s_delay_alu instid0(VALU_DEP_1) | instskip(SKIP_3) | instid1(VALU_DEP_2)
	v_add_f32_e32 v27, v11, v38
	v_sub_f32_e32 v11, v11, v38
	v_mul_f32_e32 v36, 0xbf5db3d7, v30
	v_dual_sub_f32 v30, v29, v35 :: v_dual_sub_f32 v29, v32, v33
	v_fmac_f32_e32 v36, -0.5, v40
	s_delay_alu instid0(VALU_DEP_1)
	v_add_f32_e32 v26, v10, v36
	v_sub_f32_e32 v10, v10, v36
	ds_store_2addr_b64 v173, v[8:9], v[12:13] offset1:18
	ds_store_2addr_b64 v173, v[14:15], v[16:17] offset0:36 offset1:54
	ds_store_2addr_b64 v173, v[18:19], v[20:21] offset0:72 offset1:90
	ds_store_2addr_b64 v172, v[22:23], v[24:25] offset1:18
	ds_store_2addr_b64 v172, v[26:27], v[28:29] offset0:36 offset1:54
	ds_store_2addr_b64 v172, v[30:31], v[10:11] offset0:72 offset1:90
	s_and_saveexec_b32 s1, s0
	s_cbranch_execz .LBB0_29
; %bb.28:
	v_mul_f32_e32 v8, v7, v78
	v_dual_mul_f32 v9, v3, v82 :: v_dual_mul_f32 v10, v1, v85
	v_mul_f32_e32 v1, v1, v84
	v_mul_f32_e32 v11, v142, v86
	v_dual_mul_f32 v12, v142, v87 :: v_dual_mul_f32 v13, v5, v80
	s_delay_alu instid0(VALU_DEP_4) | instskip(NEXT) | instid1(VALU_DEP_4)
	v_fmac_f32_e32 v10, v0, v84
	v_fma_f32 v14, v0, v85, -v1
	s_delay_alu instid0(VALU_DEP_4)
	v_fma_f32 v11, v141, v87, -v11
	v_fma_f32 v8, v6, v79, -v8
	v_mul_f32_e32 v5, v5, v81
	v_fmac_f32_e32 v12, v141, v86
	v_fma_f32 v0, v4, v81, -v13
	v_add_f32_e32 v13, v14, v11
	v_fma_f32 v9, v2, v83, -v9
	v_fmac_f32_e32 v5, v4, v80
	v_add_f32_e32 v20, v8, v77
	s_delay_alu instid0(VALU_DEP_4) | instskip(SKIP_4) | instid1(VALU_DEP_3)
	v_fma_f32 v4, -0.5, v13, v0
	v_sub_f32_e32 v13, v10, v12
	v_mul_f32_e32 v7, v7, v79
	v_dual_add_f32 v1, v9, v8 :: v_dual_sub_f32 v8, v8, v9
	v_add_f32_e32 v0, v14, v0
	v_dual_fmac_f32 v7, v6, v78 :: v_dual_fmamk_f32 v6, v13, 0xbf5db3d7, v4
	v_dual_fmac_f32 v4, 0x3f5db3d7, v13 :: v_dual_mul_f32 v15, v3, v83
	s_delay_alu instid0(VALU_DEP_4) | instskip(NEXT) | instid1(VALU_DEP_2)
	v_fma_f32 v16, -0.5, v1, v77
	v_dual_mul_f32 v18, 0.5, v4 :: v_dual_fmac_f32 v15, v2, v82
	v_add_f32_e32 v3, v10, v12
	s_delay_alu instid0(VALU_DEP_2) | instskip(NEXT) | instid1(VALU_DEP_1)
	v_sub_f32_e32 v1, v7, v15
	v_fmamk_f32 v19, v1, 0xbf5db3d7, v16
	v_fmac_f32_e32 v16, 0x3f5db3d7, v1
	s_delay_alu instid0(VALU_DEP_4) | instskip(SKIP_4) | instid1(VALU_DEP_3)
	v_fma_f32 v2, -0.5, v3, v5
	v_sub_f32_e32 v3, v14, v11
	v_dual_add_f32 v5, v10, v5 :: v_dual_add_f32 v14, v9, v20
	v_mul_f32_e32 v17, -0.5, v6
	v_mul_f32_e32 v6, 0xbf5db3d7, v6
	v_dual_fmamk_f32 v13, v3, 0x3f5db3d7, v2 :: v_dual_add_f32 v12, v12, v5
	v_add_f32_e32 v21, v15, v7
	v_dual_fmac_f32 v2, 0xbf5db3d7, v3 :: v_dual_add_f32 v11, v11, v0
	v_add_f32_e32 v0, v7, v76
	s_delay_alu instid0(VALU_DEP_4) | instskip(NEXT) | instid1(VALU_DEP_4)
	v_fmac_f32_e32 v6, -0.5, v13
	v_fma_f32 v20, -0.5, v21, v76
	s_delay_alu instid0(VALU_DEP_4) | instskip(NEXT) | instid1(VALU_DEP_2)
	v_fmac_f32_e32 v18, 0x3f5db3d7, v2
	v_dual_add_f32 v10, v15, v0 :: v_dual_fmamk_f32 v21, v8, 0x3f5db3d7, v20
	v_fmac_f32_e32 v17, 0x3f5db3d7, v13
	v_mul_f32_e32 v13, 0xbf5db3d7, v4
	s_delay_alu instid0(VALU_DEP_3)
	v_dual_sub_f32 v3, v16, v18 :: v_dual_sub_f32 v4, v10, v12
	v_fmac_f32_e32 v20, 0xbf5db3d7, v8
	v_add_f32_e32 v10, v10, v12
	v_dual_sub_f32 v0, v21, v6 :: v_dual_sub_f32 v1, v19, v17
	v_add_f32_e32 v6, v21, v6
	v_dual_fmac_f32 v13, 0.5, v2 :: v_dual_and_b32 v2, 0xffff, v171
	v_sub_f32_e32 v5, v14, v11
	v_add_f32_e32 v9, v16, v18
	s_delay_alu instid0(VALU_DEP_3) | instskip(NEXT) | instid1(VALU_DEP_4)
	v_dual_add_f32 v11, v14, v11 :: v_dual_add_f32 v8, v20, v13
	v_lshlrev_b32_e32 v12, 3, v2
	v_sub_f32_e32 v2, v20, v13
	v_add_f32_e32 v7, v19, v17
	ds_store_2addr_b64 v12, v[10:11], v[8:9] offset1:18
	ds_store_2addr_b64 v12, v[6:7], v[4:5] offset0:36 offset1:54
	ds_store_2addr_b64 v12, v[2:3], v[0:1] offset0:72 offset1:90
.LBB0_29:
	s_wait_alu 0xfffe
	s_or_b32 exec_lo, exec_lo, s1
	global_wb scope:SCOPE_SE
	s_wait_dscnt 0x0
	s_barrier_signal -1
	s_barrier_wait -1
	global_inv scope:SCOPE_SE
	ds_load_2addr_b64 v[3:6], v159 offset1:108
	v_add_nc_u32_e32 v2, 0x400, v159
	v_add_nc_u32_e32 v35, 0xc00, v159
	s_mov_b32 s2, 0xbda12f68
	s_mov_b32 s3, 0x3f42f684
	s_wait_dscnt 0x0
	v_mul_f32_e32 v40, v73, v5
	v_mul_f32_e32 v39, v73, v6
	ds_load_2addr_b64 v[7:10], v2 offset0:88 offset1:196
	ds_load_2addr_b64 v[11:14], v35 offset0:48 offset1:156
	v_add_nc_u32_e32 v36, 0x1000, v159
	v_add_nc_u32_e32 v0, 0x1800, v159
	;; [unrolled: 1-line block ×3, first 2 shown]
	v_fmac_f32_e32 v39, v72, v5
	v_add_nc_u32_e32 v1, 0x2800, v159
	v_add_nc_u32_e32 v38, 0x2c00, v159
	v_fma_f32 v5, v72, v6, -v40
	s_wait_dscnt 0x1
	v_mul_f32_e32 v41, v65, v10
	s_wait_dscnt 0x0
	v_mul_f32_e32 v43, v67, v12
	ds_load_2addr_b64 v[15:18], v36 offset0:136 offset1:244
	ds_load_2addr_b64 v[19:22], v0 offset0:96 offset1:204
	v_mul_f32_e32 v6, v75, v8
	v_mul_f32_e32 v42, v65, v9
	ds_load_2addr_b64 v[23:26], v37 offset0:56 offset1:164
	ds_load_2addr_b64 v[27:30], v1 offset0:16 offset1:124
	;; [unrolled: 1-line block ×3, first 2 shown]
	v_dual_mul_f32 v40, v75, v7 :: v_dual_fmac_f32 v41, v64, v9
	v_fmac_f32_e32 v6, v74, v7
	v_fma_f32 v9, v64, v10, -v42
	v_dual_mul_f32 v10, v57, v14 :: v_dual_fmac_f32 v43, v66, v11
	s_delay_alu instid0(VALU_DEP_4) | instskip(SKIP_4) | instid1(VALU_DEP_2)
	v_fma_f32 v7, v74, v8, -v40
	v_mul_f32_e32 v8, v67, v11
	s_wait_dscnt 0x4
	v_dual_mul_f32 v40, v57, v13 :: v_dual_mul_f32 v11, v59, v16
	v_dual_fmac_f32 v10, v56, v13 :: v_dual_mul_f32 v13, v59, v15
	v_fmac_f32_e32 v11, v58, v15
	v_mul_f32_e32 v15, v49, v17
	v_fma_f32 v8, v66, v12, -v8
	v_fma_f32 v12, v56, v14, -v40
	v_mul_f32_e32 v14, v49, v18
	s_wait_dscnt 0x3
	v_mul_f32_e32 v40, v51, v20
	v_fma_f32 v13, v58, v16, -v13
	v_mul_f32_e32 v16, v51, v19
	v_fma_f32 v15, v48, v18, -v15
	s_wait_dscnt 0x2
	v_dual_fmac_f32 v40, v50, v19 :: v_dual_mul_f32 v19, v71, v24
	v_dual_fmac_f32 v14, v48, v17 :: v_dual_mul_f32 v17, v69, v22
	s_delay_alu instid0(VALU_DEP_2) | instskip(NEXT) | instid1(VALU_DEP_2)
	v_dual_mul_f32 v18, v69, v21 :: v_dual_fmac_f32 v19, v70, v23
	v_fmac_f32_e32 v17, v68, v21
	v_fma_f32 v16, v50, v20, -v16
	s_delay_alu instid0(VALU_DEP_3) | instskip(SKIP_3) | instid1(VALU_DEP_3)
	v_fma_f32 v18, v68, v22, -v18
	v_dual_mul_f32 v21, v61, v26 :: v_dual_mul_f32 v20, v71, v23
	s_wait_dscnt 0x1
	v_dual_mul_f32 v23, v63, v28 :: v_dual_mul_f32 v22, v61, v25
	v_dual_sub_f32 v19, v6, v19 :: v_dual_sub_f32 v18, v5, v18
	s_delay_alu instid0(VALU_DEP_3)
	v_fmac_f32_e32 v21, v60, v25
	v_fma_f32 v20, v70, v24, -v20
	v_dual_mul_f32 v24, v63, v27 :: v_dual_mul_f32 v25, v53, v30
	v_fmac_f32_e32 v23, v62, v27
	v_fma_f32 v22, v60, v26, -v22
	s_wait_dscnt 0x0
	v_dual_mul_f32 v26, v53, v29 :: v_dual_mul_f32 v27, v55, v32
	v_fma_f32 v24, v62, v28, -v24
	v_dual_fmac_f32 v25, v52, v29 :: v_dual_mul_f32 v28, v55, v31
	s_delay_alu instid0(VALU_DEP_3) | instskip(NEXT) | instid1(VALU_DEP_3)
	v_fma_f32 v26, v52, v30, -v26
	v_dual_fmac_f32 v27, v54, v31 :: v_dual_sub_f32 v24, v8, v24
	v_dual_mul_f32 v29, v154, v34 :: v_dual_sub_f32 v16, v4, v16
	s_delay_alu instid0(VALU_DEP_4) | instskip(NEXT) | instid1(VALU_DEP_3)
	v_fma_f32 v28, v54, v32, -v28
	v_dual_sub_f32 v27, v11, v27 :: v_dual_sub_f32 v26, v12, v26
	v_dual_mul_f32 v30, v154, v33 :: v_dual_sub_f32 v31, v3, v40
	s_delay_alu instid0(VALU_DEP_3) | instskip(SKIP_1) | instid1(VALU_DEP_4)
	v_dual_sub_f32 v23, v43, v23 :: v_dual_sub_f32 v28, v13, v28
	v_fma_f32 v6, v6, 2.0, -v19
	v_fma_f32 v11, v11, 2.0, -v27
	v_dual_fmac_f32 v29, v153, v33 :: v_dual_sub_f32 v20, v7, v20
	v_fma_f32 v30, v153, v34, -v30
	v_fma_f32 v8, v8, 2.0, -v24
	v_fma_f32 v13, v13, 2.0, -v28
	v_dual_add_f32 v24, v31, v24 :: v_dual_sub_f32 v11, v6, v11
	v_add_f32_e32 v28, v19, v28
	v_fma_f32 v3, v3, 2.0, -v31
	v_fma_f32 v4, v4, 2.0, -v16
	;; [unrolled: 1-line block ×3, first 2 shown]
	v_dual_sub_f32 v17, v39, v17 :: v_dual_sub_f32 v22, v9, v22
	v_dual_sub_f32 v25, v10, v25 :: v_dual_sub_f32 v30, v15, v30
	v_fma_f32 v5, v5, 2.0, -v18
	s_delay_alu instid0(VALU_DEP_4)
	v_dual_sub_f32 v21, v41, v21 :: v_dual_sub_f32 v32, v3, v32
	v_dual_sub_f32 v29, v14, v29 :: v_dual_sub_f32 v8, v4, v8
	v_fma_f32 v12, v12, 2.0, -v26
	v_sub_f32_e32 v23, v16, v23
	v_fma_f32 v31, v31, 2.0, -v24
	v_sub_f32_e32 v27, v20, v27
	;; [unrolled: 2-line block ×3, first 2 shown]
	v_fma_f32 v7, v7, 2.0, -v20
	v_fma_f32 v33, v39, 2.0, -v17
	;; [unrolled: 1-line block ×9, first 2 shown]
	v_fmamk_f32 v39, v19, 0xbf3504f3, v31
	v_dual_sub_f32 v13, v7, v13 :: v_dual_sub_f32 v10, v33, v10
	v_dual_add_f32 v26, v17, v26 :: v_dual_sub_f32 v25, v18, v25
	v_dual_sub_f32 v14, v34, v14 :: v_dual_sub_f32 v15, v9, v15
	v_dual_add_f32 v30, v21, v30 :: v_dual_sub_f32 v29, v22, v29
	v_fmamk_f32 v42, v20, 0xbf3504f3, v16
	v_dual_fmac_f32 v39, 0x3f3504f3, v20 :: v_dual_sub_f32 v44, v8, v11
	v_fma_f32 v3, v3, 2.0, -v32
	v_fma_f32 v4, v4, 2.0, -v8
	;; [unrolled: 1-line block ×10, first 2 shown]
	v_fmac_f32_e32 v42, 0xbf3504f3, v19
	v_fma_f32 v19, v31, 2.0, -v39
	v_add_f32_e32 v31, v32, v13
	v_fmamk_f32 v45, v27, 0x3f3504f3, v23
	v_fma_f32 v18, v18, 2.0, -v25
	v_dual_sub_f32 v40, v3, v6 :: v_dual_sub_f32 v41, v4, v7
	v_fma_f32 v6, v22, 2.0, -v29
	v_fmamk_f32 v43, v28, 0x3f3504f3, v24
	v_fma_f32 v22, v32, 2.0, -v31
	v_sub_f32_e32 v32, v33, v34
	v_dual_sub_f32 v34, v5, v9 :: v_dual_fmac_f32 v45, 0xbf3504f3, v28
	v_fmamk_f32 v46, v6, 0xbf3504f3, v18
	v_dual_fmamk_f32 v28, v21, 0xbf3504f3, v17 :: v_dual_add_f32 v47, v10, v15
	v_fma_f32 v7, v3, 2.0, -v40
	v_fma_f32 v20, v4, 2.0, -v41
	s_delay_alu instid0(VALU_DEP_3) | instskip(SKIP_3) | instid1(VALU_DEP_4)
	v_dual_fmac_f32 v43, 0x3f3504f3, v27 :: v_dual_fmac_f32 v28, 0x3f3504f3, v6
	v_fma_f32 v3, v33, 2.0, -v32
	v_fma_f32 v4, v5, 2.0, -v34
	v_dual_fmamk_f32 v33, v30, 0x3f3504f3, v26 :: v_dual_sub_f32 v48, v12, v14
	v_fma_f32 v11, v17, 2.0, -v28
	s_delay_alu instid0(VALU_DEP_3) | instskip(SKIP_1) | instid1(VALU_DEP_4)
	v_dual_fmamk_f32 v49, v29, 0x3f3504f3, v25 :: v_dual_sub_f32 v4, v20, v4
	v_fmac_f32_e32 v46, 0xbf3504f3, v21
	v_fmac_f32_e32 v33, 0x3f3504f3, v29
	v_fma_f32 v16, v16, 2.0, -v42
	v_fma_f32 v27, v8, 2.0, -v44
	;; [unrolled: 1-line block ×3, first 2 shown]
	v_fmac_f32_e32 v49, 0xbf3504f3, v30
	v_fma_f32 v9, v18, 2.0, -v46
	v_fma_f32 v8, v20, 2.0, -v4
	v_sub_f32_e32 v20, v41, v32
	v_fma_f32 v17, v26, 2.0, -v33
	v_fmamk_f32 v5, v11, 0xbf6c835e, v19
	v_fma_f32 v24, v24, 2.0, -v43
	v_fma_f32 v12, v12, 2.0, -v48
	v_dual_sub_f32 v3, v7, v3 :: v_dual_fmamk_f32 v6, v9, 0xbf6c835e, v16
	s_delay_alu instid0(VALU_DEP_4) | instskip(NEXT) | instid1(VALU_DEP_3)
	v_fmac_f32_e32 v5, 0x3ec3ef15, v9
	v_dual_fmamk_f32 v9, v14, 0xbf3504f3, v22 :: v_dual_fmamk_f32 v10, v12, 0xbf3504f3, v27
	v_fma_f32 v23, v23, 2.0, -v45
	v_fma_f32 v15, v25, 2.0, -v49
	v_fmac_f32_e32 v6, 0xbec3ef15, v11
	v_fmamk_f32 v11, v17, 0xbec3ef15, v24
	v_dual_fmac_f32 v9, 0x3f3504f3, v12 :: v_dual_fmamk_f32 v26, v48, 0x3f3504f3, v44
	v_fmac_f32_e32 v10, 0xbf3504f3, v14
	v_fmamk_f32 v12, v15, 0xbec3ef15, v23
	s_delay_alu instid0(VALU_DEP_4) | instskip(NEXT) | instid1(VALU_DEP_4)
	v_fmac_f32_e32 v11, 0x3f6c835e, v15
	v_fma_f32 v15, v22, 2.0, -v9
	v_dual_fmamk_f32 v22, v46, 0x3ec3ef15, v42 :: v_dual_fmamk_f32 v21, v28, 0x3ec3ef15, v39
	v_fma_f32 v13, v19, 2.0, -v5
	v_add_f32_e32 v19, v40, v34
	v_fma_f32 v14, v16, 2.0, -v6
	v_fma_f32 v16, v27, 2.0, -v10
	v_fmac_f32_e32 v22, 0xbf6c835e, v28
	v_fmamk_f32 v25, v47, 0x3f3504f3, v31
	v_fmamk_f32 v27, v33, 0x3f6c835e, v43
	;; [unrolled: 1-line block ×3, first 2 shown]
	v_fmac_f32_e32 v12, 0xbf6c835e, v17
	v_fmac_f32_e32 v21, 0x3f6c835e, v46
	;; [unrolled: 1-line block ×6, first 2 shown]
	v_fma_f32 v7, v7, 2.0, -v3
	v_fma_f32 v17, v24, 2.0, -v11
	;; [unrolled: 1-line block ×11, first 2 shown]
	ds_store_2addr_b64 v159, v[7:8], v[13:14] offset1:108
	ds_store_2addr_b64 v2, v[15:16], v[17:18] offset0:88 offset1:196
	ds_store_2addr_b64 v35, v[23:24], v[29:30] offset0:48 offset1:156
	ds_store_2addr_b64 v36, v[31:32], v[33:34] offset0:136 offset1:244
	ds_store_2addr_b64 v0, v[3:4], v[5:6] offset0:96 offset1:204
	ds_store_2addr_b64 v37, v[9:10], v[11:12] offset0:56 offset1:164
	ds_store_2addr_b64 v1, v[19:20], v[21:22] offset0:16 offset1:124
	ds_store_2addr_b64 v38, v[25:26], v[27:28] offset0:104 offset1:212
	global_wb scope:SCOPE_SE
	s_wait_dscnt 0x0
	s_barrier_signal -1
	s_barrier_wait -1
	global_inv scope:SCOPE_SE
	ds_load_2addr_b64 v[3:6], v159 offset1:108
	ds_load_2addr_b64 v[7:10], v35 offset0:48 offset1:192
	ds_load_2addr_b64 v[11:14], v37 offset0:128 offset1:236
	v_mad_co_u64_u32 v[27:28], null, s6, v118, 0
	v_mad_co_u64_u32 v[29:30], null, s4, v160, 0
	ds_load_b64 v[45:46], v159 offset:12672
	v_mad_co_u64_u32 v[31:32], null, s7, v118, v[28:29]
	s_wait_dscnt 0x3
	v_mul_f32_e32 v15, v138, v4
	s_wait_dscnt 0x2
	v_mul_f32_e32 v19, v140, v9
	v_mul_f32_e32 v24, v136, v5
	;; [unrolled: 1-line block ×3, first 2 shown]
	v_mad_co_u64_u32 v[32:33], null, s5, v160, v[30:31]
	v_fmac_f32_e32 v15, v137, v3
	v_mul_f32_e32 v3, v138, v3
	s_delay_alu instid0(VALU_DEP_4)
	v_fmac_f32_e32 v23, v135, v5
	v_mul_f32_e32 v53, v115, v8
	s_wait_dscnt 0x0
	v_mul_f32_e32 v57, v128, v45
	v_cvt_f64_f32_e32 v[15:16], v15
	v_fma_f32 v3, v137, v4, -v3
	v_mul_f32_e32 v4, v140, v10
	v_dual_mov_b32 v30, v32 :: v_dual_fmac_f32 v53, v114, v7
	v_fma_f32 v57, v127, v46, -v57
	s_delay_alu instid0(VALU_DEP_4) | instskip(NEXT) | instid1(VALU_DEP_4)
	v_cvt_f64_f32_e32 v[17:18], v3
	v_fmac_f32_e32 v4, v139, v9
	v_fma_f32 v3, v139, v10, -v19
	v_cvt_f64_f32_e32 v[53:54], v53
	v_mul_f32_e32 v56, v128, v46
	s_delay_alu instid0(VALU_DEP_4) | instskip(NEXT) | instid1(VALU_DEP_4)
	v_cvt_f64_f32_e32 v[9:10], v4
	v_cvt_f64_f32_e32 v[19:20], v3
	v_mul_f32_e32 v3, v134, v12
	v_mul_f32_e32 v4, v134, v11
	s_delay_alu instid0(VALU_DEP_2) | instskip(NEXT) | instid1(VALU_DEP_2)
	v_dual_fmac_f32 v56, v127, v45 :: v_dual_fmac_f32 v3, v133, v11
	v_fma_f32 v4, v133, v12, -v4
	s_delay_alu instid0(VALU_DEP_2) | instskip(SKIP_1) | instid1(VALU_DEP_3)
	v_cvt_f64_f32_e32 v[11:12], v3
	v_fma_f32 v3, v135, v6, -v24
	v_cvt_f64_f32_e32 v[21:22], v4
	s_delay_alu instid0(VALU_DEP_2)
	v_cvt_f64_f32_e32 v[25:26], v3
	v_add_nc_u32_e32 v3, 0x1400, v159
	ds_load_2addr_b64 v[3:6], v3 offset0:44 offset1:152
	s_wait_alu 0xfffe
	v_mul_f64_e32 v[15:16], s[2:3], v[15:16]
	v_mul_f64_e32 v[17:18], s[2:3], v[17:18]
	;; [unrolled: 1-line block ×4, first 2 shown]
	s_wait_dscnt 0x0
	v_mul_f32_e32 v35, v132, v4
	v_dual_mul_f32 v28, v132, v3 :: v_dual_mul_f32 v41, v117, v6
	s_delay_alu instid0(VALU_DEP_2) | instskip(NEXT) | instid1(VALU_DEP_2)
	v_fmac_f32_e32 v35, v131, v3
	v_fma_f32 v3, v131, v4, -v28
	v_mov_b32_e32 v28, v31
	v_mul_f64_e32 v[33:34], s[2:3], v[11:12]
	v_lshlrev_b64_e32 v[11:12], 3, v[29:30]
	v_mad_co_u64_u32 v[29:30], null, s4, v161, 0
	v_cvt_f64_f32_e32 v[31:32], v3
	v_lshlrev_b64_e32 v[3:4], 3, v[27:28]
	v_mul_f64_e32 v[21:22], s[2:3], v[21:22]
	v_mul_f64_e32 v[25:26], s[2:3], v[25:26]
	s_delay_alu instid0(VALU_DEP_3) | instskip(SKIP_1) | instid1(VALU_DEP_4)
	v_add_co_u32 v61, s0, s8, v3
	s_wait_alu 0xf1ff
	v_add_co_ci_u32_e64 v62, s0, s9, v4, s0
	v_cvt_f32_f64_e32 v27, v[15:16]
	v_mul_f32_e32 v15, v120, v14
	v_mul_f32_e32 v16, v120, v13
	v_cvt_f32_f64_e32 v28, v[17:18]
	v_add_co_u32 v17, s0, v61, v11
	s_wait_alu 0xf1ff
	v_add_co_ci_u32_e64 v18, s0, v62, v12, s0
	s_mul_u64 s[0:1], s[4:5], 0x240
	v_cvt_f32_f64_e32 v37, v[9:10]
	ds_load_2addr_b64 v[9:12], v2 offset0:88 offset1:196
	v_fma_f32 v14, v119, v14, -v16
	s_wait_alu 0xfffe
	s_lshl_b64 s[6:7], s[0:1], 3
	v_cvt_f32_f64_e32 v38, v[19:20]
	s_wait_alu 0xfffe
	v_add_co_u32 v19, s0, v17, s6
	s_wait_alu 0xf1ff
	v_add_co_ci_u32_e64 v20, s0, s7, v18, s0
	s_mul_i32 s1, s5, 0xfffff160
	s_delay_alu instid0(VALU_DEP_1)
	v_mad_co_u64_u32 v[59:60], null, 0xfffff160, s4, v[19:20]
	v_cvt_f32_f64_e32 v33, v[33:34]
	v_cvt_f32_f64_e32 v34, v[21:22]
	s_wait_dscnt 0x0
	v_mul_f32_e32 v44, v122, v12
	v_cvt_f64_f32_e32 v[23:24], v23
	v_mov_b32_e32 v3, v30
	v_cvt_f32_f64_e32 v22, v[25:26]
	v_mul_f64_e32 v[25:26], s[2:3], v[31:32]
	v_fmac_f32_e32 v44, v121, v11
	s_delay_alu instid0(VALU_DEP_4) | instskip(NEXT) | instid1(VALU_DEP_1)
	v_mad_co_u64_u32 v[2:3], null, s5, v161, v[3:4]
	v_mov_b32_e32 v30, v2
	ds_load_2addr_b64 v[1:4], v1 offset0:88 offset1:196
	v_lshlrev_b64_e32 v[29:30], 3, v[29:30]
	s_delay_alu instid0(VALU_DEP_1) | instskip(SKIP_1) | instid1(VALU_DEP_2)
	v_add_co_u32 v29, s0, v61, v29
	s_wait_alu 0xf1ff
	v_add_co_ci_u32_e64 v30, s0, v62, v30, s0
	s_wait_alu 0xfffe
	s_sub_co_i32 s0, s1, s4
	s_wait_alu 0xfffe
	v_dual_fmac_f32 v41, v116, v5 :: v_dual_add_nc_u32 v60, s0, v60
	s_wait_dscnt 0x0
	v_mul_f32_e32 v50, v113, v4
	v_cvt_f64_f32_e32 v[35:36], v35
	v_mul_f32_e32 v51, v113, v3
	v_mul_f64_e32 v[23:24], s[2:3], v[23:24]
	s_delay_alu instid0(VALU_DEP_4) | instskip(SKIP_1) | instid1(VALU_DEP_4)
	v_dual_fmac_f32 v15, v119, v13 :: v_dual_fmac_f32 v50, v112, v3
	v_mul_f32_e32 v13, v130, v9
	v_fma_f32 v4, v112, v4, -v51
	v_mul_f32_e32 v43, v126, v1
	s_delay_alu instid0(VALU_DEP_4) | instskip(SKIP_4) | instid1(VALU_DEP_3)
	v_cvt_f64_f32_e32 v[31:32], v15
	v_cvt_f64_f32_e32 v[41:42], v41
	v_fma_f32 v39, v129, v10, -v13
	v_cvt_f64_f32_e32 v[51:52], v4
	v_mul_f32_e32 v4, v115, v7
	v_cvt_f64_f32_e32 v[39:40], v39
	s_delay_alu instid0(VALU_DEP_2) | instskip(SKIP_4) | instid1(VALU_DEP_2)
	v_fma_f32 v4, v114, v8, -v4
	v_cvt_f32_f64_e32 v21, v[23:24]
	v_mul_f64_e32 v[23:24], s[2:3], v[35:36]
	v_mul_f32_e32 v35, v130, v10
	v_mul_f64_e32 v[31:32], s[2:3], v[31:32]
	v_fmac_f32_e32 v35, v129, v9
	v_cvt_f64_f32_e32 v[9:10], v14
	ds_load_2addr_b64 v[13:16], v0 offset0:132 offset1:240
	v_dual_mul_f32 v0, v117, v5 :: v_dual_mul_f32 v5, v126, v2
	v_cvt_f64_f32_e32 v[35:36], v35
	v_fma_f32 v2, v125, v2, -v43
	v_cvt_f64_f32_e32 v[43:44], v44
	s_delay_alu instid0(VALU_DEP_4)
	v_fma_f32 v0, v116, v6, -v0
	v_dual_fmac_f32 v5, v125, v1 :: v_dual_mul_f32 v6, v122, v11
	v_mul_f64_e32 v[39:40], s[2:3], v[39:40]
	s_clause 0x3
	global_store_b64 v[17:18], v[27:28], off
	global_store_b64 v[19:20], v[37:38], off
	;; [unrolled: 1-line block ×4, first 2 shown]
	v_cvt_f64_f32_e32 v[0:1], v0
	v_fma_f32 v47, v121, v12, -v6
	v_cvt_f64_f32_e32 v[11:12], v2
	s_wait_dscnt 0x0
	v_mul_f32_e32 v2, v111, v14
	v_mul_f32_e32 v49, v111, v13
	v_cvt_f64_f32_e32 v[5:6], v5
	v_mul_f32_e32 v55, v124, v16
	s_delay_alu instid0(VALU_DEP_4) | instskip(NEXT) | instid1(VALU_DEP_4)
	v_dual_mul_f32 v7, v124, v15 :: v_dual_fmac_f32 v2, v110, v13
	v_fma_f32 v13, v110, v14, -v49
	v_cvt_f64_f32_e32 v[47:48], v47
	s_delay_alu instid0(VALU_DEP_4) | instskip(NEXT) | instid1(VALU_DEP_4)
	v_fmac_f32_e32 v55, v123, v15
	v_fma_f32 v58, v123, v16, -v7
	v_cvt_f64_f32_e32 v[2:3], v2
	v_cvt_f64_f32_e32 v[13:14], v13
	;; [unrolled: 1-line block ×8, first 2 shown]
	v_mul_f64_e32 v[9:10], s[2:3], v[9:10]
	v_mul_f64_e32 v[35:36], s[2:3], v[35:36]
	;; [unrolled: 1-line block ×3, first 2 shown]
	v_cvt_f32_f64_e32 v19, v[23:24]
	v_mul_f64_e32 v[21:22], s[2:3], v[43:44]
	v_cvt_f32_f64_e32 v20, v[25:26]
	v_mul_f64_e32 v[27:28], s[2:3], v[51:52]
	v_mul_f64_e32 v[29:30], s[2:3], v[53:54]
	v_add_co_u32 v43, s0, v59, s6
	s_wait_alu 0xf1ff
	v_add_co_ci_u32_e64 v44, s0, s7, v60, s0
	v_mul_f64_e32 v[0:1], s[2:3], v[0:1]
	v_mul_f64_e32 v[11:12], s[2:3], v[11:12]
	;; [unrolled: 1-line block ×12, first 2 shown]
	v_cvt_f32_f64_e32 v8, v[31:32]
	v_cvt_f32_f64_e32 v9, v[9:10]
	v_add_co_u32 v31, s0, v43, s6
	s_wait_alu 0xf1ff
	v_add_co_ci_u32_e64 v32, s0, s7, v44, s0
	v_cvt_f32_f64_e32 v35, v[35:36]
	v_cvt_f32_f64_e32 v36, v[39:40]
	v_cvt_f32_f64_e32 v17, v[17:18]
	s_movk_i32 s0, 0xfbec
	s_mov_b32 s1, -1
	v_cvt_f32_f64_e32 v10, v[21:22]
	s_wait_alu 0xfffe
	s_mul_u64 s[0:1], s[4:5], s[0:1]
	v_cvt_f32_f64_e32 v21, v[29:30]
	s_wait_alu 0xfffe
	s_lshl_b64 s[4:5], s[0:1], 3
	global_store_b64 v[43:44], v[19:20], off
	s_wait_alu 0xfffe
	v_add_co_u32 v39, s0, v31, s4
	v_cvt_f32_f64_e32 v18, v[0:1]
	s_wait_alu 0xf1ff
	v_add_co_ci_u32_e64 v40, s0, s5, v32, s0
	v_cvt_f32_f64_e32 v1, v[11:12]
	v_cvt_f32_f64_e32 v0, v[4:5]
	v_add_co_u32 v4, s0, v39, s6
	s_wait_alu 0xf1ff
	v_add_co_ci_u32_e64 v5, s0, s7, v40, s0
	v_cvt_f32_f64_e32 v11, v[23:24]
	s_delay_alu instid0(VALU_DEP_3)
	v_add_co_u32 v23, s0, v4, s6
	v_cvt_f32_f64_e32 v2, v[2:3]
	v_cvt_f32_f64_e32 v3, v[13:14]
	;; [unrolled: 1-line block ×7, first 2 shown]
	s_wait_alu 0xf1ff
	v_add_co_ci_u32_e64 v24, s0, s7, v5, s0
	v_cvt_f32_f64_e32 v14, v[37:38]
	v_cvt_f32_f64_e32 v15, v[41:42]
	v_add_co_u32 v19, s0, v23, s4
	s_wait_alu 0xf1ff
	v_add_co_ci_u32_e64 v20, s0, s5, v24, s0
	global_store_b64 v[31:32], v[8:9], off
	v_add_co_u32 v8, s0, v19, s6
	s_wait_alu 0xf1ff
	v_add_co_ci_u32_e64 v9, s0, s7, v20, s0
	global_store_b64 v[39:40], v[35:36], off
	;; [unrolled: 4-line block ×6, first 2 shown]
	global_store_b64 v[25:26], v[12:13], off
	global_store_b64 v[4:5], v[21:22], off
	;; [unrolled: 1-line block ×4, first 2 shown]
	s_and_b32 exec_lo, exec_lo, vcc_lo
	s_cbranch_execz .LBB0_31
; %bb.30:
	global_load_b64 v[6:7], v[108:109], off offset:4320
	v_add_nc_u32_e32 v2, 0xe0, v159
	v_add_co_u32 v0, vcc_lo, v0, s4
	s_wait_alu 0xfffd
	v_add_co_ci_u32_e32 v1, vcc_lo, s5, v1, vcc_lo
	ds_load_2addr_stride64_b64 v[2:5], v2 offset0:8 offset1:17
	s_wait_loadcnt_dscnt 0x0
	v_mul_f32_e32 v8, v3, v7
	v_mul_f32_e32 v7, v2, v7
	s_delay_alu instid0(VALU_DEP_2) | instskip(NEXT) | instid1(VALU_DEP_2)
	v_fmac_f32_e32 v8, v2, v6
	v_fma_f32 v6, v6, v3, -v7
	s_delay_alu instid0(VALU_DEP_2) | instskip(NEXT) | instid1(VALU_DEP_2)
	v_cvt_f64_f32_e32 v[2:3], v8
	v_cvt_f64_f32_e32 v[6:7], v6
	s_delay_alu instid0(VALU_DEP_2) | instskip(NEXT) | instid1(VALU_DEP_2)
	v_mul_f64_e32 v[2:3], s[2:3], v[2:3]
	v_mul_f64_e32 v[6:7], s[2:3], v[6:7]
	s_delay_alu instid0(VALU_DEP_2) | instskip(NEXT) | instid1(VALU_DEP_2)
	v_cvt_f32_f64_e32 v2, v[2:3]
	v_cvt_f32_f64_e32 v3, v[6:7]
	global_store_b64 v[0:1], v[2:3], off
	global_load_b64 v[2:3], v[108:109], off offset:8928
	v_add_co_u32 v0, vcc_lo, v0, s6
	s_wait_alu 0xfffd
	v_add_co_ci_u32_e32 v1, vcc_lo, s7, v1, vcc_lo
	s_wait_loadcnt 0x0
	v_mul_f32_e32 v6, v5, v3
	v_mul_f32_e32 v3, v4, v3
	s_delay_alu instid0(VALU_DEP_2) | instskip(NEXT) | instid1(VALU_DEP_2)
	v_fmac_f32_e32 v6, v4, v2
	v_fma_f32 v4, v2, v5, -v3
	s_delay_alu instid0(VALU_DEP_2) | instskip(NEXT) | instid1(VALU_DEP_2)
	v_cvt_f64_f32_e32 v[2:3], v6
	v_cvt_f64_f32_e32 v[4:5], v4
	s_delay_alu instid0(VALU_DEP_2) | instskip(NEXT) | instid1(VALU_DEP_2)
	v_mul_f64_e32 v[2:3], s[2:3], v[2:3]
	v_mul_f64_e32 v[4:5], s[2:3], v[4:5]
	s_delay_alu instid0(VALU_DEP_2) | instskip(NEXT) | instid1(VALU_DEP_2)
	v_cvt_f32_f64_e32 v2, v[2:3]
	v_cvt_f32_f64_e32 v3, v[4:5]
	ds_load_b64 v[4:5], v159 offset:13536
	global_store_b64 v[0:1], v[2:3], off
	global_load_b64 v[2:3], v[108:109], off offset:13536
	v_add_co_u32 v0, vcc_lo, v0, s6
	s_wait_alu 0xfffd
	v_add_co_ci_u32_e32 v1, vcc_lo, s7, v1, vcc_lo
	s_wait_loadcnt_dscnt 0x0
	v_mul_f32_e32 v6, v5, v3
	v_mul_f32_e32 v3, v4, v3
	s_delay_alu instid0(VALU_DEP_2) | instskip(NEXT) | instid1(VALU_DEP_2)
	v_fmac_f32_e32 v6, v4, v2
	v_fma_f32 v4, v2, v5, -v3
	s_delay_alu instid0(VALU_DEP_2) | instskip(NEXT) | instid1(VALU_DEP_2)
	v_cvt_f64_f32_e32 v[2:3], v6
	v_cvt_f64_f32_e32 v[4:5], v4
	s_delay_alu instid0(VALU_DEP_2) | instskip(NEXT) | instid1(VALU_DEP_2)
	v_mul_f64_e32 v[2:3], s[2:3], v[2:3]
	v_mul_f64_e32 v[4:5], s[2:3], v[4:5]
	s_delay_alu instid0(VALU_DEP_2) | instskip(NEXT) | instid1(VALU_DEP_2)
	v_cvt_f32_f64_e32 v2, v[2:3]
	v_cvt_f32_f64_e32 v3, v[4:5]
	global_store_b64 v[0:1], v[2:3], off
.LBB0_31:
	s_nop 0
	s_sendmsg sendmsg(MSG_DEALLOC_VGPRS)
	s_endpgm
	.section	.rodata,"a",@progbits
	.p2align	6, 0x0
	.amdhsa_kernel bluestein_single_back_len1728_dim1_sp_op_CI_CI
		.amdhsa_group_segment_fixed_size 13824
		.amdhsa_private_segment_fixed_size 0
		.amdhsa_kernarg_size 104
		.amdhsa_user_sgpr_count 2
		.amdhsa_user_sgpr_dispatch_ptr 0
		.amdhsa_user_sgpr_queue_ptr 0
		.amdhsa_user_sgpr_kernarg_segment_ptr 1
		.amdhsa_user_sgpr_dispatch_id 0
		.amdhsa_user_sgpr_private_segment_size 0
		.amdhsa_wavefront_size32 1
		.amdhsa_uses_dynamic_stack 0
		.amdhsa_enable_private_segment 0
		.amdhsa_system_sgpr_workgroup_id_x 1
		.amdhsa_system_sgpr_workgroup_id_y 0
		.amdhsa_system_sgpr_workgroup_id_z 0
		.amdhsa_system_sgpr_workgroup_info 0
		.amdhsa_system_vgpr_workitem_id 0
		.amdhsa_next_free_vgpr 222
		.amdhsa_next_free_sgpr 18
		.amdhsa_reserve_vcc 1
		.amdhsa_float_round_mode_32 0
		.amdhsa_float_round_mode_16_64 0
		.amdhsa_float_denorm_mode_32 3
		.amdhsa_float_denorm_mode_16_64 3
		.amdhsa_fp16_overflow 0
		.amdhsa_workgroup_processor_mode 1
		.amdhsa_memory_ordered 1
		.amdhsa_forward_progress 0
		.amdhsa_round_robin_scheduling 0
		.amdhsa_exception_fp_ieee_invalid_op 0
		.amdhsa_exception_fp_denorm_src 0
		.amdhsa_exception_fp_ieee_div_zero 0
		.amdhsa_exception_fp_ieee_overflow 0
		.amdhsa_exception_fp_ieee_underflow 0
		.amdhsa_exception_fp_ieee_inexact 0
		.amdhsa_exception_int_div_zero 0
	.end_amdhsa_kernel
	.text
.Lfunc_end0:
	.size	bluestein_single_back_len1728_dim1_sp_op_CI_CI, .Lfunc_end0-bluestein_single_back_len1728_dim1_sp_op_CI_CI
                                        ; -- End function
	.section	.AMDGPU.csdata,"",@progbits
; Kernel info:
; codeLenInByte = 16040
; NumSgprs: 20
; NumVgprs: 222
; ScratchSize: 0
; MemoryBound: 0
; FloatMode: 240
; IeeeMode: 1
; LDSByteSize: 13824 bytes/workgroup (compile time only)
; SGPRBlocks: 2
; VGPRBlocks: 27
; NumSGPRsForWavesPerEU: 20
; NumVGPRsForWavesPerEU: 222
; Occupancy: 6
; WaveLimiterHint : 1
; COMPUTE_PGM_RSRC2:SCRATCH_EN: 0
; COMPUTE_PGM_RSRC2:USER_SGPR: 2
; COMPUTE_PGM_RSRC2:TRAP_HANDLER: 0
; COMPUTE_PGM_RSRC2:TGID_X_EN: 1
; COMPUTE_PGM_RSRC2:TGID_Y_EN: 0
; COMPUTE_PGM_RSRC2:TGID_Z_EN: 0
; COMPUTE_PGM_RSRC2:TIDIG_COMP_CNT: 0
	.text
	.p2alignl 7, 3214868480
	.fill 96, 4, 3214868480
	.type	__hip_cuid_21f94bb84dd89615,@object ; @__hip_cuid_21f94bb84dd89615
	.section	.bss,"aw",@nobits
	.globl	__hip_cuid_21f94bb84dd89615
__hip_cuid_21f94bb84dd89615:
	.byte	0                               ; 0x0
	.size	__hip_cuid_21f94bb84dd89615, 1

	.ident	"AMD clang version 19.0.0git (https://github.com/RadeonOpenCompute/llvm-project roc-6.4.0 25133 c7fe45cf4b819c5991fe208aaa96edf142730f1d)"
	.section	".note.GNU-stack","",@progbits
	.addrsig
	.addrsig_sym __hip_cuid_21f94bb84dd89615
	.amdgpu_metadata
---
amdhsa.kernels:
  - .args:
      - .actual_access:  read_only
        .address_space:  global
        .offset:         0
        .size:           8
        .value_kind:     global_buffer
      - .actual_access:  read_only
        .address_space:  global
        .offset:         8
        .size:           8
        .value_kind:     global_buffer
      - .actual_access:  read_only
        .address_space:  global
        .offset:         16
        .size:           8
        .value_kind:     global_buffer
      - .actual_access:  read_only
        .address_space:  global
        .offset:         24
        .size:           8
        .value_kind:     global_buffer
      - .actual_access:  read_only
        .address_space:  global
        .offset:         32
        .size:           8
        .value_kind:     global_buffer
      - .offset:         40
        .size:           8
        .value_kind:     by_value
      - .address_space:  global
        .offset:         48
        .size:           8
        .value_kind:     global_buffer
      - .address_space:  global
        .offset:         56
        .size:           8
        .value_kind:     global_buffer
      - .address_space:  global
        .offset:         64
        .size:           8
        .value_kind:     global_buffer
      - .address_space:  global
        .offset:         72
        .size:           8
        .value_kind:     global_buffer
      - .offset:         80
        .size:           4
        .value_kind:     by_value
      - .address_space:  global
        .offset:         88
        .size:           8
        .value_kind:     global_buffer
      - .address_space:  global
        .offset:         96
        .size:           8
        .value_kind:     global_buffer
    .group_segment_fixed_size: 13824
    .kernarg_segment_align: 8
    .kernarg_segment_size: 104
    .language:       OpenCL C
    .language_version:
      - 2
      - 0
    .max_flat_workgroup_size: 108
    .name:           bluestein_single_back_len1728_dim1_sp_op_CI_CI
    .private_segment_fixed_size: 0
    .sgpr_count:     20
    .sgpr_spill_count: 0
    .symbol:         bluestein_single_back_len1728_dim1_sp_op_CI_CI.kd
    .uniform_work_group_size: 1
    .uses_dynamic_stack: false
    .vgpr_count:     222
    .vgpr_spill_count: 0
    .wavefront_size: 32
    .workgroup_processor_mode: 1
amdhsa.target:   amdgcn-amd-amdhsa--gfx1201
amdhsa.version:
  - 1
  - 2
...

	.end_amdgpu_metadata
